;; amdgpu-corpus repo=ROCm/rocFFT kind=compiled arch=gfx906 opt=O3
	.text
	.amdgcn_target "amdgcn-amd-amdhsa--gfx906"
	.amdhsa_code_object_version 6
	.protected	bluestein_single_back_len1183_dim1_dp_op_CI_CI ; -- Begin function bluestein_single_back_len1183_dim1_dp_op_CI_CI
	.globl	bluestein_single_back_len1183_dim1_dp_op_CI_CI
	.p2align	8
	.type	bluestein_single_back_len1183_dim1_dp_op_CI_CI,@function
bluestein_single_back_len1183_dim1_dp_op_CI_CI: ; @bluestein_single_back_len1183_dim1_dp_op_CI_CI
; %bb.0:
	s_load_dwordx4 s[8:11], s[4:5], 0x28
	v_mul_u32_u24_e32 v1, 0x2d1, v0
	v_lshrrev_b32_e32 v36, 16, v1
	v_lshl_add_u32 v182, s6, 1, v36
	v_mov_b32_e32 v183, 0
	s_waitcnt lgkmcnt(0)
	v_cmp_gt_u64_e32 vcc, s[8:9], v[182:183]
	s_and_saveexec_b64 s[0:1], vcc
	s_cbranch_execz .LBB0_15
; %bb.1:
	s_load_dwordx4 s[0:3], s[4:5], 0x18
	v_mul_lo_u16_e32 v1, 0x5b, v36
	v_sub_u16_e32 v184, v0, v1
	v_lshlrev_b32_e32 v83, 4, v184
	v_and_b32_e32 v36, 1, v36
	s_waitcnt lgkmcnt(0)
	s_load_dwordx4 s[12:15], s[0:1], 0x0
	v_mov_b32_e32 v65, 0x49f
	s_waitcnt lgkmcnt(0)
	v_mad_u64_u32 v[0:1], s[0:1], s14, v182, 0
	v_mad_u64_u32 v[2:3], s[0:1], s12, v184, 0
	s_mul_i32 s6, s13, 0xa9
	s_mul_hi_u32 s7, s12, 0xa9
	v_mad_u64_u32 v[4:5], s[0:1], s15, v182, v[1:2]
	s_load_dwordx2 s[14:15], s[4:5], 0x0
	s_add_i32 s7, s7, s6
	v_mad_u64_u32 v[5:6], s[0:1], s13, v184, v[3:4]
	v_mov_b32_e32 v1, v4
	v_lshlrev_b64 v[0:1], 4, v[0:1]
	v_mov_b32_e32 v6, s11
	v_mov_b32_e32 v3, v5
	v_add_co_u32_e32 v4, vcc, s10, v0
	v_addc_co_u32_e32 v5, vcc, v6, v1, vcc
	v_lshlrev_b64 v[0:1], 4, v[2:3]
	s_waitcnt lgkmcnt(0)
	v_mov_b32_e32 v2, s15
	v_add_co_u32_e32 v0, vcc, v4, v0
	v_add_co_u32_e64 v180, s[0:1], s14, v83
	s_mul_i32 s6, s12, 0xa9
	v_addc_co_u32_e32 v1, vcc, v5, v1, vcc
	v_addc_co_u32_e64 v181, vcc, 0, v2, s[0:1]
	s_lshl_b64 s[16:17], s[6:7], 4
	global_load_dwordx4 v[37:40], v[0:1], off
	v_mov_b32_e32 v10, s17
	v_add_co_u32_e32 v0, vcc, s16, v0
	v_addc_co_u32_e32 v1, vcc, v1, v10, vcc
	v_add_co_u32_e32 v2, vcc, s16, v0
	v_addc_co_u32_e32 v3, vcc, v1, v10, vcc
	s_movk_i32 s6, 0x1000
	v_add_co_u32_e32 v28, vcc, s6, v180
	v_addc_co_u32_e32 v29, vcc, 0, v181, vcc
	global_load_dwordx4 v[24:27], v83, s[14:15]
	global_load_dwordx4 v[16:19], v83, s[14:15] offset:2704
	global_load_dwordx4 v[41:44], v[0:1], off
	global_load_dwordx4 v[45:48], v[2:3], off
	v_add_co_u32_e32 v0, vcc, s16, v2
	v_addc_co_u32_e32 v1, vcc, v3, v10, vcc
	v_add_co_u32_e32 v8, vcc, s16, v0
	v_addc_co_u32_e32 v9, vcc, v1, v10, vcc
	s_movk_i32 s6, 0x2000
	global_load_dwordx4 v[20:23], v[28:29], off offset:1312
	global_load_dwordx4 v[4:7], v[28:29], off offset:4016
	v_add_co_u32_e32 v30, vcc, s6, v180
	v_addc_co_u32_e32 v31, vcc, 0, v181, vcc
	global_load_dwordx4 v[49:52], v[0:1], off
	global_load_dwordx4 v[53:56], v[8:9], off
	v_add_co_u32_e32 v8, vcc, s16, v8
	v_addc_co_u32_e32 v9, vcc, v9, v10, vcc
	s_movk_i32 s6, 0x3000
	v_add_co_u32_e32 v32, vcc, s6, v180
	global_load_dwordx4 v[0:3], v[30:31], off offset:2624
	v_addc_co_u32_e32 v33, vcc, 0, v181, vcc
	global_load_dwordx4 v[57:60], v[8:9], off
	v_add_co_u32_e32 v34, vcc, s16, v8
	v_addc_co_u32_e32 v35, vcc, v9, v10, vcc
	global_load_dwordx4 v[8:11], v[32:33], off offset:1232
	global_load_dwordx4 v[12:15], v[32:33], off offset:3936
	global_load_dwordx4 v[61:64], v[34:35], off
	v_cmp_eq_u32_e32 vcc, 1, v36
	v_cndmask_b32_e32 v36, 0, v65, vcc
	v_lshlrev_b32_e32 v185, 4, v36
	s_load_dwordx2 s[6:7], s[4:5], 0x38
	s_load_dwordx4 s[8:11], s[2:3], 0x0
	s_movk_i32 s2, 0x4e
	v_add_u32_e32 v183, v185, v83
	v_cmp_gt_u16_e32 vcc, s2, v184
	s_waitcnt vmcnt(12)
	v_mul_f64 v[65:66], v[39:40], v[26:27]
	v_mul_f64 v[67:68], v[37:38], v[26:27]
	s_waitcnt vmcnt(10)
	v_mul_f64 v[69:70], v[43:44], v[18:19]
	v_mul_f64 v[71:72], v[41:42], v[18:19]
	v_fma_f64 v[36:37], v[37:38], v[24:25], v[65:66]
	v_fma_f64 v[38:39], v[39:40], v[24:25], -v[67:68]
	v_fma_f64 v[40:41], v[41:42], v[16:17], v[69:70]
	s_waitcnt vmcnt(8)
	v_mul_f64 v[73:74], v[47:48], v[22:23]
	v_mul_f64 v[75:76], v[45:46], v[22:23]
	v_fma_f64 v[42:43], v[43:44], v[16:17], -v[71:72]
	s_waitcnt vmcnt(6)
	v_mul_f64 v[77:78], v[51:52], v[6:7]
	v_mul_f64 v[79:80], v[49:50], v[6:7]
	v_fma_f64 v[44:45], v[45:46], v[20:21], v[73:74]
	v_fma_f64 v[46:47], v[47:48], v[20:21], -v[75:76]
	v_fma_f64 v[48:49], v[49:50], v[4:5], v[77:78]
	s_waitcnt vmcnt(4)
	v_mul_f64 v[81:82], v[55:56], v[2:3]
	v_mul_f64 v[65:66], v[53:54], v[2:3]
	v_fma_f64 v[50:51], v[51:52], v[4:5], -v[79:80]
	s_waitcnt vmcnt(2)
	v_mul_f64 v[67:68], v[59:60], v[10:11]
	v_mul_f64 v[69:70], v[57:58], v[10:11]
	s_waitcnt vmcnt(0)
	v_mul_f64 v[71:72], v[63:64], v[14:15]
	v_mul_f64 v[73:74], v[61:62], v[14:15]
	v_fma_f64 v[52:53], v[53:54], v[0:1], v[81:82]
	v_fma_f64 v[54:55], v[55:56], v[0:1], -v[65:66]
	v_fma_f64 v[56:57], v[57:58], v[8:9], v[67:68]
	v_fma_f64 v[58:59], v[59:60], v[8:9], -v[69:70]
	;; [unrolled: 2-line block ×3, first 2 shown]
	ds_write_b128 v183, v[36:39]
	ds_write_b128 v183, v[40:43] offset:2704
	ds_write_b128 v183, v[44:47] offset:5408
	;; [unrolled: 1-line block ×6, first 2 shown]
	s_and_saveexec_b64 s[18:19], vcc
	s_cbranch_execz .LBB0_3
; %bb.2:
	v_mov_b32_e32 v36, 0xffffc650
	v_mad_u64_u32 v[38:39], s[2:3], s12, v36, v[34:35]
	s_mul_i32 s2, s13, 0xffffc650
	s_sub_i32 s2, s2, s12
	v_add_u32_e32 v39, s2, v39
	v_mov_b32_e32 v82, s17
	v_add_co_u32_e64 v50, s[2:3], s16, v38
	v_addc_co_u32_e64 v51, s[2:3], v39, v82, s[2:3]
	v_add_co_u32_e64 v54, s[2:3], s16, v50
	v_addc_co_u32_e64 v55, s[2:3], v51, v82, s[2:3]
	;; [unrolled: 2-line block ×3, first 2 shown]
	global_load_dwordx4 v[34:37], v[38:39], off
	s_nop 0
	global_load_dwordx4 v[38:41], v[50:51], off
	global_load_dwordx4 v[42:45], v[180:181], off offset:1456
	global_load_dwordx4 v[46:49], v[28:29], off offset:64
	s_nop 0
	global_load_dwordx4 v[50:53], v[54:55], off
	s_nop 0
	global_load_dwordx4 v[54:57], v[66:67], off
	global_load_dwordx4 v[58:61], v[28:29], off offset:2768
	global_load_dwordx4 v[62:65], v[30:31], off offset:1376
	v_add_co_u32_e64 v28, s[2:3], s16, v66
	v_addc_co_u32_e64 v29, s[2:3], v67, v82, s[2:3]
	global_load_dwordx4 v[66:69], v[28:29], off
	v_add_co_u32_e64 v28, s[2:3], s16, v28
	v_addc_co_u32_e64 v29, s[2:3], v29, v82, s[2:3]
	global_load_dwordx4 v[70:73], v[28:29], off
	global_load_dwordx4 v[74:77], v[30:31], off offset:4080
	global_load_dwordx4 v[78:81], v[32:33], off offset:2688
	v_add_co_u32_e64 v32, s[2:3], s16, v28
	v_addc_co_u32_e64 v33, s[2:3], v29, v82, s[2:3]
	s_movk_i32 s2, 0x4000
	v_add_co_u32_e64 v86, s[2:3], s2, v180
	v_addc_co_u32_e64 v87, s[2:3], 0, v181, s[2:3]
	global_load_dwordx4 v[28:31], v[86:87], off offset:1296
	global_load_dwordx4 v[82:85], v[32:33], off
	s_waitcnt vmcnt(11)
	v_mul_f64 v[32:33], v[36:37], v[44:45]
	v_mul_f64 v[44:45], v[34:35], v[44:45]
	s_waitcnt vmcnt(10)
	v_mul_f64 v[86:87], v[40:41], v[48:49]
	v_mul_f64 v[48:49], v[38:39], v[48:49]
	;; [unrolled: 3-line block ×7, first 2 shown]
	v_fma_f64 v[30:31], v[34:35], v[42:43], v[32:33]
	v_fma_f64 v[32:33], v[36:37], v[42:43], -v[44:45]
	v_fma_f64 v[34:35], v[38:39], v[46:47], v[86:87]
	v_fma_f64 v[36:37], v[40:41], v[46:47], -v[48:49]
	;; [unrolled: 2-line block ×7, first 2 shown]
	ds_write_b128 v183, v[30:33] offset:1456
	ds_write_b128 v183, v[34:37] offset:4160
	;; [unrolled: 1-line block ×7, first 2 shown]
.LBB0_3:
	s_or_b64 exec, exec, s[18:19]
	s_waitcnt lgkmcnt(0)
	s_barrier
	ds_read_b128 v[56:59], v183
	ds_read_b128 v[72:75], v183 offset:2704
	ds_read_b128 v[68:71], v183 offset:5408
	;; [unrolled: 1-line block ×6, first 2 shown]
	s_load_dwordx2 s[4:5], s[4:5], 0x8
                                        ; implicit-def: $vgpr28_vgpr29
                                        ; implicit-def: $vgpr32_vgpr33
                                        ; implicit-def: $vgpr36_vgpr37
                                        ; implicit-def: $vgpr40_vgpr41
                                        ; implicit-def: $vgpr44_vgpr45
                                        ; implicit-def: $vgpr48_vgpr49
                                        ; implicit-def: $vgpr52_vgpr53
	s_and_saveexec_b64 s[2:3], vcc
	s_cbranch_execz .LBB0_5
; %bb.4:
	ds_read_b128 v[28:31], v183 offset:1456
	ds_read_b128 v[32:35], v183 offset:4160
	;; [unrolled: 1-line block ×7, first 2 shown]
.LBB0_5:
	s_or_b64 exec, exec, s[2:3]
	s_waitcnt lgkmcnt(0)
	v_add_f64 v[84:85], v[72:73], v[80:81]
	v_add_f64 v[86:87], v[74:75], v[82:83]
	v_add_f64 v[72:73], v[72:73], -v[80:81]
	v_add_f64 v[74:75], v[74:75], -v[82:83]
	v_add_f64 v[80:81], v[68:69], v[76:77]
	v_add_f64 v[82:83], v[70:71], v[78:79]
	v_add_f64 v[68:69], v[68:69], -v[76:77]
	v_add_f64 v[70:71], v[70:71], -v[78:79]
	;; [unrolled: 4-line block ×4, first 2 shown]
	v_add_f64 v[92:93], v[84:85], -v[76:77]
	v_add_f64 v[94:95], v[86:87], -v[78:79]
	;; [unrolled: 1-line block ×4, first 2 shown]
	v_add_f64 v[84:85], v[60:61], v[68:69]
	v_add_f64 v[86:87], v[62:63], v[70:71]
	v_add_f64 v[96:97], v[60:61], -v[68:69]
	v_add_f64 v[98:99], v[62:63], -v[70:71]
	v_add_f64 v[64:65], v[76:77], v[64:65]
	v_add_f64 v[66:67], v[78:79], v[66:67]
	v_add_f64 v[68:69], v[68:69], -v[72:73]
	v_add_f64 v[70:71], v[70:71], -v[74:75]
	s_movk_i32 s2, 0x5b
	v_add_co_u32_e64 v122, s[2:3], s2, v184
	s_mov_b32 s24, 0x37e14327
	s_mov_b32 s18, 0x36b3c0b5
	;; [unrolled: 1-line block ×8, first 2 shown]
	v_add_f64 v[60:61], v[72:73], -v[60:61]
	v_add_f64 v[62:63], v[74:75], -v[62:63]
	v_add_f64 v[72:73], v[84:85], v[72:73]
	v_add_f64 v[74:75], v[86:87], v[74:75]
	;; [unrolled: 1-line block ×4, first 2 shown]
	v_mul_f64 v[56:57], v[92:93], s[24:25]
	v_mul_f64 v[58:59], v[94:95], s[24:25]
	;; [unrolled: 1-line block ×8, first 2 shown]
	s_mov_b32 s26, 0xaaaaaaaa
	s_mov_b32 s16, 0x5476071b
	;; [unrolled: 1-line block ×10, first 2 shown]
	v_fma_f64 v[64:65], v[64:65], s[26:27], v[84:85]
	v_fma_f64 v[66:67], v[66:67], s[26:27], v[86:87]
	;; [unrolled: 1-line block ×4, first 2 shown]
	v_fma_f64 v[76:77], v[88:89], s[16:17], -v[76:77]
	v_fma_f64 v[78:79], v[90:91], s[16:17], -v[78:79]
	;; [unrolled: 1-line block ×4, first 2 shown]
	v_fma_f64 v[88:89], v[60:61], s[28:29], v[92:93]
	v_fma_f64 v[90:91], v[62:63], s[28:29], v[94:95]
	v_fma_f64 v[60:61], v[60:61], s[22:23], -v[96:97]
	v_fma_f64 v[62:63], v[62:63], s[22:23], -v[98:99]
	s_mov_b32 s22, 0x37c3f68c
	s_mov_b32 s23, 0x3fdc38aa
	v_add_f64 v[104:105], v[56:57], v[64:65]
	v_add_f64 v[106:107], v[58:59], v[66:67]
	;; [unrolled: 1-line block ×4, first 2 shown]
	v_fma_f64 v[116:117], v[72:73], s[22:23], v[60:61]
	v_fma_f64 v[118:119], v[74:75], s[22:23], v[62:63]
	v_add_f64 v[60:61], v[34:35], v[54:55]
	v_add_f64 v[62:63], v[38:39], v[50:51]
	v_add_f64 v[108:109], v[80:81], v[64:65]
	v_add_f64 v[76:77], v[76:77], v[64:65]
	v_add_f64 v[52:53], v[32:33], -v[52:53]
	v_add_f64 v[32:33], v[34:35], -v[54:55]
	v_add_f64 v[34:35], v[40:41], v[44:45]
	v_add_f64 v[64:65], v[42:43], v[46:47]
	v_add_f64 v[54:55], v[36:37], -v[48:49]
	v_add_f64 v[36:37], v[38:39], -v[50:51]
	v_add_f64 v[38:39], v[58:59], v[56:57]
	v_add_f64 v[48:49], v[62:63], v[60:61]
	v_add_f64 v[40:41], v[44:45], -v[40:41]
	v_add_f64 v[42:43], v[46:47], -v[42:43]
	v_fma_f64 v[68:69], v[68:69], s[2:3], -v[92:93]
	v_fma_f64 v[70:71], v[70:71], s[2:3], -v[94:95]
	v_add_f64 v[110:111], v[82:83], v[66:67]
	v_add_f64 v[78:79], v[78:79], v[66:67]
	v_add_f64 v[44:45], v[56:57], -v[34:35]
	v_add_f64 v[46:47], v[60:61], -v[64:65]
	;; [unrolled: 1-line block ×3, first 2 shown]
	v_add_f64 v[34:35], v[34:35], v[38:39]
	v_add_f64 v[38:39], v[64:65], v[48:49]
	v_add_f64 v[50:51], v[32:33], -v[42:43]
	v_add_f64 v[80:81], v[52:53], -v[40:41]
	v_fma_f64 v[112:113], v[74:75], s[22:23], v[90:91]
	v_fma_f64 v[114:115], v[72:73], s[22:23], v[88:89]
	;; [unrolled: 1-line block ×4, first 2 shown]
	v_add_f64 v[68:69], v[64:65], -v[62:63]
	v_add_f64 v[70:71], v[40:41], v[54:55]
	v_add_f64 v[92:93], v[42:43], v[36:37]
	v_add_f64 v[72:73], v[40:41], -v[54:55]
	v_add_f64 v[64:65], v[42:43], -v[36:37]
	v_add_f64 v[28:29], v[28:29], v[34:35]
	v_add_f64 v[30:31], v[30:31], v[38:39]
	v_mul_f64 v[48:49], v[44:45], s[24:25]
	v_mul_f64 v[74:75], v[46:47], s[24:25]
	v_mul_f64 v[50:51], v[50:51], s[28:29]
	v_mul_f64 v[80:81], v[80:81], s[28:29]
	v_add_f64 v[82:83], v[70:71], v[52:53]
	v_add_f64 v[70:71], v[92:93], v[32:33]
	v_fma_f64 v[44:45], v[34:35], s[26:27], v[28:29]
	v_fma_f64 v[46:47], v[38:39], s[26:27], v[30:31]
	;; [unrolled: 1-line block ×6, first 2 shown]
	v_add_f64 v[96:97], v[76:77], -v[100:101]
	v_add_f64 v[98:99], v[102:103], v[78:79]
	v_add_f64 v[100:101], v[76:77], v[100:101]
	v_add_f64 v[102:103], v[78:79], -v[102:103]
	v_add_f64 v[34:35], v[34:35], v[44:45]
	v_add_f64 v[40:41], v[38:39], v[46:47]
	v_fma_f64 v[38:39], v[70:71], s[22:23], v[42:43]
	v_fma_f64 v[42:43], v[82:83], s[22:23], v[120:121]
	v_add_f64 v[88:89], v[108:109], v[112:113]
	v_add_f64 v[90:91], v[110:111], -v[114:115]
	v_add_f64 v[92:93], v[104:105], v[118:119]
	v_add_f64 v[94:95], v[106:107], -v[116:117]
	v_add_f64 v[104:105], v[104:105], -v[118:119]
	v_add_f64 v[106:107], v[116:117], v[106:107]
	v_add_f64 v[76:77], v[34:35], -v[38:39]
	v_add_f64 v[78:79], v[42:43], v[40:41]
	;; [unrolled: 2-line block ×3, first 2 shown]
	v_mul_lo_u16_e32 v112, 7, v184
	v_lshl_add_u32 v187, v112, 4, v185
	v_mul_u32_u24_e32 v186, 7, v122
	s_barrier
	ds_write_b128 v187, v[84:87]
	ds_write_b128 v187, v[88:91] offset:16
	ds_write_b128 v187, v[92:95] offset:32
	;; [unrolled: 1-line block ×6, first 2 shown]
	s_and_saveexec_b64 s[24:25], vcc
	s_cbranch_execz .LBB0_7
; %bb.6:
	v_add_f64 v[52:53], v[54:55], -v[52:53]
	v_add_f64 v[54:55], v[62:63], -v[60:61]
	v_mul_f64 v[62:63], v[68:69], s[18:19]
	v_mul_f64 v[68:69], v[72:73], s[12:13]
	v_add_f64 v[56:57], v[58:59], -v[56:57]
	v_add_f64 v[32:33], v[36:37], -v[32:33]
	v_mul_f64 v[60:61], v[66:67], s[18:19]
	v_mul_f64 v[58:59], v[64:65], s[12:13]
	s_mov_b32 s19, 0xbfebfeb5
	s_mov_b32 s18, s2
	v_mul_f64 v[66:67], v[82:83], s[22:23]
	v_fma_f64 v[72:73], v[52:53], s[18:19], -v[80:81]
	v_fma_f64 v[74:75], v[54:55], s[20:21], -v[74:75]
	v_mul_f64 v[36:37], v[70:71], s[22:23]
	v_fma_f64 v[54:55], v[54:55], s[16:17], -v[62:63]
	v_fma_f64 v[52:53], v[52:53], s[2:3], -v[68:69]
	v_fma_f64 v[48:49], v[56:57], s[20:21], -v[48:49]
	v_fma_f64 v[50:51], v[32:33], s[18:19], -v[50:51]
	v_fma_f64 v[56:57], v[56:57], s[16:17], -v[60:61]
	v_fma_f64 v[32:33], v[32:33], s[2:3], -v[58:59]
	v_add_f64 v[62:63], v[66:67], v[72:73]
	v_add_f64 v[64:65], v[74:75], v[46:47]
	v_add_f64 v[46:47], v[54:55], v[46:47]
	v_add_f64 v[52:53], v[66:67], v[52:53]
	v_add_f64 v[54:55], v[48:49], v[44:45]
	v_add_f64 v[58:59], v[36:37], v[50:51]
	v_add_f64 v[56:57], v[56:57], v[44:45]
	v_add_f64 v[32:33], v[36:37], v[32:33]
	v_add_f64 v[40:41], v[40:41], -v[42:43]
	v_add_f64 v[38:39], v[34:35], v[38:39]
	v_add_f64 v[36:37], v[62:63], v[64:65]
	v_add_f64 v[44:45], v[46:47], -v[52:53]
	v_add_f64 v[48:49], v[52:53], v[46:47]
	v_add_f64 v[52:53], v[64:65], -v[62:63]
	v_add_f64 v[50:51], v[54:55], v[58:59]
	v_add_f64 v[46:47], v[56:57], -v[32:33]
	v_add_f64 v[42:43], v[56:57], v[32:33]
	v_add_f64 v[34:35], v[54:55], -v[58:59]
	v_lshl_add_u32 v32, v186, 4, v185
	ds_write_b128 v32, v[28:31]
	ds_write_b128 v32, v[38:41] offset:16
	ds_write_b128 v32, v[50:53] offset:32
	;; [unrolled: 1-line block ×6, first 2 shown]
.LBB0_7:
	s_or_b64 exec, exec, s[24:25]
	v_mov_b32_e32 v28, 37
	v_mul_lo_u16_sdwa v28, v184, v28 dst_sel:DWORD dst_unused:UNUSED_PAD src0_sel:BYTE_0 src1_sel:DWORD
	v_sub_u16_sdwa v29, v184, v28 dst_sel:DWORD dst_unused:UNUSED_PAD src0_sel:DWORD src1_sel:BYTE_1
	v_lshrrev_b16_e32 v29, 1, v29
	v_and_b32_e32 v29, 0x7f, v29
	v_add_u16_sdwa v28, v29, v28 dst_sel:DWORD dst_unused:UNUSED_PAD src0_sel:DWORD src1_sel:BYTE_1
	v_lshrrev_b16_e32 v92, 2, v28
	v_mul_lo_u16_e32 v28, 7, v92
	v_sub_u16_e32 v93, v184, v28
	v_mov_b32_e32 v28, 12
	v_mul_u32_u24_sdwa v28, v93, v28 dst_sel:DWORD dst_unused:UNUSED_PAD src0_sel:BYTE_0 src1_sel:DWORD
	v_lshlrev_b32_e32 v80, 4, v28
	s_waitcnt lgkmcnt(0)
	s_barrier
	global_load_dwordx4 v[72:75], v80, s[4:5]
	global_load_dwordx4 v[68:71], v80, s[4:5] offset:16
	global_load_dwordx4 v[40:43], v80, s[4:5] offset:32
	;; [unrolled: 1-line block ×11, first 2 shown]
	ds_read_b128 v[94:97], v183
	ds_read_b128 v[80:83], v183 offset:1456
	ds_read_b128 v[84:87], v183 offset:2912
	;; [unrolled: 1-line block ×12, first 2 shown]
	s_mov_b32 s44, 0x4267c47c
	s_mov_b32 s45, 0xbfddbe06
	;; [unrolled: 1-line block ×36, first 2 shown]
	v_mul_u32_u24_e32 v92, 0x5b, v92
	v_add_u32_sdwa v92, v92, v93 dst_sel:DWORD dst_unused:UNUSED_PAD src0_sel:DWORD src1_sel:BYTE_0
	s_waitcnt vmcnt(0) lgkmcnt(0)
	s_barrier
	s_movk_i32 s14, 0xc0
	v_mul_f64 v[134:135], v[82:83], v[74:75]
	v_mul_f64 v[136:137], v[80:81], v[74:75]
	;; [unrolled: 1-line block ×9, first 2 shown]
	v_fma_f64 v[80:81], v[80:81], v[72:73], -v[134:135]
	v_fma_f64 v[82:83], v[82:83], v[72:73], v[136:137]
	v_mul_f64 v[144:145], v[88:89], v[42:43]
	v_fma_f64 v[134:135], v[84:85], v[68:69], -v[138:139]
	v_fma_f64 v[136:137], v[86:87], v[68:69], v[140:141]
	v_fma_f64 v[84:85], v[106:107], v[44:45], -v[154:155]
	v_fma_f64 v[86:87], v[108:109], v[44:45], v[156:157]
	;; [unrolled: 2-line block ×3, first 2 shown]
	v_add_f64 v[114:115], v[94:95], v[80:81]
	v_add_f64 v[116:117], v[96:97], v[82:83]
	v_mul_f64 v[146:147], v[100:101], v[34:35]
	v_mul_f64 v[148:149], v[98:99], v[34:35]
	v_fma_f64 v[138:139], v[88:89], v[40:41], -v[142:143]
	v_fma_f64 v[140:141], v[90:91], v[40:41], v[144:145]
	v_mul_f64 v[150:151], v[104:105], v[66:67]
	v_mul_f64 v[152:153], v[102:103], v[66:67]
	v_add_f64 v[114:115], v[114:115], v[134:135]
	v_add_f64 v[116:117], v[116:117], v[136:137]
	v_fma_f64 v[98:99], v[98:99], v[32:33], -v[146:147]
	v_fma_f64 v[100:101], v[100:101], v[32:33], v[148:149]
	v_mul_f64 v[158:159], v[112:113], v[38:39]
	v_mul_f64 v[160:161], v[110:111], v[38:39]
	v_fma_f64 v[102:103], v[102:103], v[64:65], -v[150:151]
	v_fma_f64 v[104:105], v[104:105], v[64:65], v[152:153]
	v_add_f64 v[114:115], v[114:115], v[138:139]
	v_add_f64 v[116:117], v[116:117], v[140:141]
	v_mul_f64 v[166:167], v[120:121], v[62:63]
	v_mul_f64 v[168:169], v[118:119], v[62:63]
	;; [unrolled: 1-line block ×4, first 2 shown]
	v_fma_f64 v[88:89], v[110:111], v[36:37], -v[158:159]
	v_fma_f64 v[90:91], v[112:113], v[36:37], v[160:161]
	v_add_f64 v[114:115], v[114:115], v[98:99]
	v_add_f64 v[116:117], v[116:117], v[100:101]
	v_fma_f64 v[110:111], v[118:119], v[60:61], -v[166:167]
	v_fma_f64 v[112:113], v[120:121], v[60:61], v[168:169]
	v_fma_f64 v[118:119], v[130:131], v[56:57], -v[178:179]
	v_fma_f64 v[120:121], v[132:133], v[56:57], v[188:189]
	v_mul_f64 v[170:171], v[124:125], v[54:55]
	v_mul_f64 v[172:173], v[122:123], v[54:55]
	v_add_f64 v[114:115], v[114:115], v[102:103]
	v_add_f64 v[116:117], v[116:117], v[104:105]
	v_mul_f64 v[174:175], v[128:129], v[50:51]
	v_mul_f64 v[176:177], v[126:127], v[50:51]
	v_add_f64 v[130:131], v[80:81], v[118:119]
	v_add_f64 v[132:133], v[82:83], v[120:121]
	v_add_f64 v[82:83], v[82:83], -v[120:121]
	v_add_f64 v[80:81], v[80:81], -v[118:119]
	v_add_f64 v[114:115], v[114:115], v[84:85]
	v_add_f64 v[116:117], v[116:117], v[86:87]
	v_fma_f64 v[122:123], v[122:123], v[52:53], -v[170:171]
	v_fma_f64 v[124:125], v[124:125], v[52:53], v[172:173]
	v_fma_f64 v[126:127], v[126:127], v[48:49], -v[174:175]
	v_fma_f64 v[128:129], v[128:129], v[48:49], v[176:177]
	v_mul_f64 v[146:147], v[82:83], s[44:45]
	v_mul_f64 v[148:149], v[80:81], s[44:45]
	v_add_f64 v[114:115], v[114:115], v[88:89]
	v_add_f64 v[116:117], v[116:117], v[90:91]
	v_mul_f64 v[150:151], v[82:83], s[28:29]
	v_mul_f64 v[152:153], v[80:81], s[28:29]
	;; [unrolled: 1-line block ×6, first 2 shown]
	v_add_f64 v[114:115], v[114:115], v[106:107]
	v_add_f64 v[116:117], v[116:117], v[108:109]
	v_mul_f64 v[162:163], v[82:83], s[24:25]
	v_mul_f64 v[164:165], v[80:81], s[24:25]
	;; [unrolled: 1-line block ×4, first 2 shown]
	v_fma_f64 v[80:81], v[130:131], s[18:19], -v[146:147]
	v_fma_f64 v[82:83], v[132:133], s[18:19], v[148:149]
	v_add_f64 v[114:115], v[114:115], v[110:111]
	v_add_f64 v[116:117], v[116:117], v[112:113]
	;; [unrolled: 1-line block ×4, first 2 shown]
	v_add_f64 v[134:135], v[134:135], -v[126:127]
	v_add_f64 v[136:137], v[136:137], -v[128:129]
	v_add_f64 v[198:199], v[94:95], v[80:81]
	v_add_f64 v[200:201], v[96:97], v[82:83]
	v_add_f64 v[80:81], v[114:115], v[122:123]
	v_add_f64 v[82:83], v[116:117], v[124:125]
	v_fma_f64 v[146:147], v[130:131], s[18:19], v[146:147]
	v_fma_f64 v[148:149], v[132:133], s[18:19], -v[148:149]
	v_mul_f64 v[172:173], v[134:135], s[28:29]
	v_mul_f64 v[170:171], v[136:137], s[28:29]
	v_fma_f64 v[174:175], v[130:131], s[12:13], -v[150:151]
	v_fma_f64 v[176:177], v[132:133], s[12:13], v[152:153]
	v_add_f64 v[80:81], v[80:81], v[126:127]
	v_add_f64 v[82:83], v[82:83], v[128:129]
	v_fma_f64 v[150:151], v[130:131], s[12:13], v[150:151]
	v_fma_f64 v[152:153], v[132:133], s[12:13], -v[152:153]
	v_fma_f64 v[178:179], v[130:131], s[2:3], -v[154:155]
	v_fma_f64 v[188:189], v[132:133], s[2:3], v[156:157]
	v_fma_f64 v[154:155], v[130:131], s[2:3], v[154:155]
	v_fma_f64 v[156:157], v[132:133], s[2:3], -v[156:157]
	v_fma_f64 v[190:191], v[130:131], s[16:17], -v[158:159]
	v_fma_f64 v[192:193], v[132:133], s[16:17], v[160:161]
	v_fma_f64 v[158:159], v[130:131], s[16:17], v[158:159]
	v_fma_f64 v[160:161], v[132:133], s[16:17], -v[160:161]
	v_fma_f64 v[194:195], v[130:131], s[22:23], -v[162:163]
	v_fma_f64 v[196:197], v[132:133], s[22:23], v[164:165]
	v_fma_f64 v[162:163], v[130:131], s[22:23], v[162:163]
	v_fma_f64 v[164:165], v[132:133], s[22:23], -v[164:165]
	v_add_f64 v[80:81], v[80:81], v[118:119]
	v_add_f64 v[82:83], v[82:83], v[120:121]
	v_fma_f64 v[118:119], v[130:131], s[26:27], -v[166:167]
	v_fma_f64 v[120:121], v[132:133], s[26:27], v[168:169]
	v_fma_f64 v[130:131], v[130:131], s[26:27], v[166:167]
	v_fma_f64 v[132:133], v[132:133], s[26:27], -v[168:169]
	v_add_f64 v[146:147], v[94:95], v[146:147]
	v_add_f64 v[148:149], v[96:97], v[148:149]
	;; [unrolled: 1-line block ×18, first 2 shown]
	v_fma_f64 v[166:167], v[142:143], s[12:13], -v[170:171]
	v_fma_f64 v[168:169], v[144:145], s[12:13], v[172:173]
	v_add_f64 v[118:119], v[94:95], v[118:119]
	v_add_f64 v[120:121], v[96:97], v[120:121]
	;; [unrolled: 1-line block ×4, first 2 shown]
	v_mul_f64 v[130:131], v[136:137], s[20:21]
	v_mul_f64 v[132:133], v[134:135], s[20:21]
	;; [unrolled: 1-line block ×4, first 2 shown]
	v_add_f64 v[166:167], v[166:167], v[198:199]
	v_add_f64 v[168:169], v[168:169], v[200:201]
	v_fma_f64 v[170:171], v[142:143], s[12:13], v[170:171]
	v_fma_f64 v[172:173], v[144:145], s[12:13], -v[172:173]
	v_fma_f64 v[194:195], v[142:143], s[16:17], -v[130:131]
	v_fma_f64 v[196:197], v[144:145], s[16:17], v[132:133]
	v_fma_f64 v[130:131], v[142:143], s[16:17], v[130:131]
	v_fma_f64 v[132:133], v[144:145], s[16:17], -v[132:133]
	v_fma_f64 v[198:199], v[142:143], s[26:27], -v[190:191]
	v_fma_f64 v[200:201], v[144:145], s[26:27], v[192:193]
	v_add_f64 v[146:147], v[170:171], v[146:147]
	v_add_f64 v[148:149], v[172:173], v[148:149]
	;; [unrolled: 1-line block ×8, first 2 shown]
	v_mul_f64 v[150:151], v[136:137], s[42:43]
	v_mul_f64 v[152:153], v[134:135], s[42:43]
	;; [unrolled: 1-line block ×4, first 2 shown]
	v_fma_f64 v[190:191], v[142:143], s[26:27], v[190:191]
	v_fma_f64 v[192:193], v[144:145], s[26:27], -v[192:193]
	v_mul_f64 v[136:137], v[136:137], s[38:39]
	v_mul_f64 v[134:135], v[134:135], s[38:39]
	v_fma_f64 v[194:195], v[142:143], s[22:23], -v[150:151]
	v_fma_f64 v[196:197], v[144:145], s[22:23], v[152:153]
	v_fma_f64 v[150:151], v[142:143], s[22:23], v[150:151]
	v_fma_f64 v[152:153], v[144:145], s[22:23], -v[152:153]
	v_fma_f64 v[198:199], v[142:143], s[2:3], -v[174:175]
	v_fma_f64 v[200:201], v[144:145], s[2:3], v[176:177]
	v_add_f64 v[154:155], v[190:191], v[154:155]
	v_add_f64 v[156:157], v[192:193], v[156:157]
	v_fma_f64 v[174:175], v[142:143], s[2:3], v[174:175]
	v_fma_f64 v[176:177], v[144:145], s[2:3], -v[176:177]
	v_add_f64 v[150:151], v[150:151], v[158:159]
	v_add_f64 v[152:153], v[152:153], v[160:161]
	;; [unrolled: 1-line block ×4, first 2 shown]
	v_add_f64 v[178:179], v[140:141], -v[124:125]
	v_add_f64 v[188:189], v[138:139], -v[122:123]
	v_add_f64 v[122:123], v[138:139], v[122:123]
	v_add_f64 v[124:125], v[140:141], v[124:125]
	v_fma_f64 v[190:191], v[142:143], s[18:19], -v[136:137]
	v_fma_f64 v[192:193], v[144:145], s[18:19], v[134:135]
	v_fma_f64 v[136:137], v[142:143], s[18:19], v[136:137]
	v_fma_f64 v[134:135], v[144:145], s[18:19], -v[134:135]
	v_mul_f64 v[138:139], v[178:179], s[36:37]
	v_mul_f64 v[140:141], v[188:189], s[36:37]
	v_add_f64 v[162:163], v[174:175], v[162:163]
	v_add_f64 v[164:165], v[176:177], v[164:165]
	;; [unrolled: 1-line block ×6, first 2 shown]
	v_fma_f64 v[142:143], v[122:123], s[2:3], -v[138:139]
	v_fma_f64 v[144:145], v[124:125], s[2:3], v[140:141]
	v_fma_f64 v[138:139], v[122:123], s[2:3], v[138:139]
	v_fma_f64 v[140:141], v[124:125], s[2:3], -v[140:141]
	v_add_f64 v[118:119], v[190:191], v[118:119]
	v_add_f64 v[120:121], v[192:193], v[120:121]
	;; [unrolled: 1-line block ×4, first 2 shown]
	v_mul_f64 v[142:143], v[178:179], s[30:31]
	v_mul_f64 v[144:145], v[188:189], s[30:31]
	;; [unrolled: 1-line block ×4, first 2 shown]
	v_add_f64 v[138:139], v[138:139], v[146:147]
	v_add_f64 v[140:141], v[140:141], v[148:149]
	v_fma_f64 v[174:175], v[122:123], s[26:27], -v[142:143]
	v_fma_f64 v[176:177], v[124:125], s[26:27], v[144:145]
	v_fma_f64 v[142:143], v[122:123], s[26:27], v[142:143]
	v_fma_f64 v[144:145], v[124:125], s[26:27], -v[144:145]
	v_fma_f64 v[146:147], v[122:123], s[16:17], -v[166:167]
	v_fma_f64 v[148:149], v[124:125], s[16:17], v[168:169]
	v_add_f64 v[170:171], v[174:175], v[170:171]
	v_add_f64 v[172:173], v[176:177], v[172:173]
	;; [unrolled: 1-line block ×4, first 2 shown]
	v_mul_f64 v[142:143], v[178:179], s[38:39]
	v_mul_f64 v[144:145], v[188:189], s[38:39]
	v_add_f64 v[130:131], v[146:147], v[130:131]
	v_add_f64 v[132:133], v[148:149], v[132:133]
	v_fma_f64 v[146:147], v[122:123], s[16:17], v[166:167]
	v_fma_f64 v[148:149], v[124:125], s[16:17], -v[168:169]
	v_mul_f64 v[166:167], v[178:179], s[28:29]
	v_mul_f64 v[168:169], v[188:189], s[28:29]
	v_fma_f64 v[174:175], v[122:123], s[18:19], -v[142:143]
	v_fma_f64 v[176:177], v[124:125], s[18:19], v[144:145]
	v_fma_f64 v[142:143], v[122:123], s[18:19], v[142:143]
	v_fma_f64 v[144:145], v[124:125], s[18:19], -v[144:145]
	v_add_f64 v[146:147], v[146:147], v[154:155]
	v_add_f64 v[148:149], v[148:149], v[156:157]
	v_fma_f64 v[154:155], v[122:123], s[12:13], -v[166:167]
	v_fma_f64 v[156:157], v[124:125], s[12:13], v[168:169]
	v_add_f64 v[126:127], v[174:175], v[126:127]
	v_add_f64 v[128:129], v[176:177], v[128:129]
	v_add_f64 v[142:143], v[142:143], v[150:151]
	v_add_f64 v[144:145], v[144:145], v[152:153]
	v_mul_f64 v[150:151], v[178:179], s[24:25]
	v_mul_f64 v[152:153], v[188:189], s[24:25]
	v_add_f64 v[154:155], v[154:155], v[158:159]
	v_add_f64 v[156:157], v[156:157], v[160:161]
	v_add_f64 v[158:159], v[100:101], -v[112:113]
	v_add_f64 v[160:161], v[98:99], -v[110:111]
	v_fma_f64 v[166:167], v[122:123], s[12:13], v[166:167]
	v_fma_f64 v[168:169], v[124:125], s[12:13], -v[168:169]
	v_fma_f64 v[174:175], v[122:123], s[22:23], -v[150:151]
	v_fma_f64 v[176:177], v[124:125], s[22:23], v[152:153]
	v_add_f64 v[98:99], v[98:99], v[110:111]
	v_add_f64 v[100:101], v[100:101], v[112:113]
	v_mul_f64 v[110:111], v[158:159], s[20:21]
	v_mul_f64 v[112:113], v[160:161], s[20:21]
	v_fma_f64 v[122:123], v[122:123], s[22:23], v[150:151]
	v_fma_f64 v[124:125], v[124:125], s[22:23], -v[152:153]
	v_add_f64 v[150:151], v[166:167], v[162:163]
	v_add_f64 v[152:153], v[168:169], v[164:165]
	;; [unrolled: 1-line block ×4, first 2 shown]
	v_fma_f64 v[162:163], v[98:99], s[16:17], -v[110:111]
	v_fma_f64 v[164:165], v[100:101], s[16:17], v[112:113]
	v_add_f64 v[94:95], v[122:123], v[94:95]
	v_add_f64 v[96:97], v[124:125], v[96:97]
	v_mul_f64 v[122:123], v[158:159], s[42:43]
	v_mul_f64 v[124:125], v[160:161], s[42:43]
	v_fma_f64 v[110:111], v[98:99], s[16:17], v[110:111]
	v_fma_f64 v[112:113], v[100:101], s[16:17], -v[112:113]
	v_add_f64 v[134:135], v[162:163], v[134:135]
	v_add_f64 v[136:137], v[164:165], v[136:137]
	v_mul_f64 v[162:163], v[158:159], s[38:39]
	v_mul_f64 v[164:165], v[160:161], s[38:39]
	v_fma_f64 v[166:167], v[98:99], s[22:23], -v[122:123]
	v_fma_f64 v[168:169], v[100:101], s[22:23], v[124:125]
	v_add_f64 v[110:111], v[110:111], v[138:139]
	v_add_f64 v[112:113], v[112:113], v[140:141]
	v_fma_f64 v[122:123], v[98:99], s[22:23], v[122:123]
	v_fma_f64 v[124:125], v[100:101], s[22:23], -v[124:125]
	v_fma_f64 v[138:139], v[98:99], s[18:19], -v[162:163]
	v_fma_f64 v[140:141], v[100:101], s[18:19], v[164:165]
	v_add_f64 v[166:167], v[166:167], v[170:171]
	v_add_f64 v[168:169], v[168:169], v[172:173]
	v_mul_f64 v[170:171], v[158:159], s[36:37]
	v_mul_f64 v[172:173], v[160:161], s[36:37]
	v_add_f64 v[114:115], v[122:123], v[114:115]
	v_add_f64 v[116:117], v[124:125], v[116:117]
	;; [unrolled: 1-line block ×4, first 2 shown]
	v_fma_f64 v[130:131], v[98:99], s[18:19], v[162:163]
	v_fma_f64 v[132:133], v[100:101], s[18:19], -v[164:165]
	v_fma_f64 v[138:139], v[98:99], s[2:3], -v[170:171]
	v_fma_f64 v[140:141], v[100:101], s[2:3], v[172:173]
	v_mul_f64 v[162:163], v[158:159], s[46:47]
	v_mul_f64 v[164:165], v[160:161], s[46:47]
	v_fma_f64 v[170:171], v[98:99], s[2:3], v[170:171]
	v_fma_f64 v[172:173], v[100:101], s[2:3], -v[172:173]
	v_add_f64 v[130:131], v[130:131], v[146:147]
	v_add_f64 v[132:133], v[132:133], v[148:149]
	;; [unrolled: 1-line block ×4, first 2 shown]
	v_fma_f64 v[138:139], v[98:99], s[26:27], -v[162:163]
	v_fma_f64 v[140:141], v[100:101], s[26:27], v[164:165]
	v_mul_f64 v[146:147], v[158:159], s[40:41]
	v_mul_f64 v[148:149], v[160:161], s[40:41]
	v_fma_f64 v[158:159], v[98:99], s[26:27], v[162:163]
	v_fma_f64 v[160:161], v[100:101], s[26:27], -v[164:165]
	v_add_f64 v[142:143], v[170:171], v[142:143]
	v_add_f64 v[144:145], v[172:173], v[144:145]
	;; [unrolled: 1-line block ×4, first 2 shown]
	v_add_f64 v[154:155], v[104:105], -v[108:109]
	v_add_f64 v[156:157], v[102:103], -v[106:107]
	v_add_f64 v[102:103], v[102:103], v[106:107]
	v_add_f64 v[104:105], v[104:105], v[108:109]
	v_fma_f64 v[162:163], v[98:99], s[12:13], -v[146:147]
	v_fma_f64 v[164:165], v[100:101], s[12:13], v[148:149]
	v_fma_f64 v[98:99], v[98:99], s[12:13], v[146:147]
	v_fma_f64 v[100:101], v[100:101], s[12:13], -v[148:149]
	v_mul_f64 v[106:107], v[154:155], s[24:25]
	v_mul_f64 v[108:109], v[156:157], s[24:25]
	v_add_f64 v[146:147], v[158:159], v[150:151]
	v_add_f64 v[148:149], v[160:161], v[152:153]
	;; [unrolled: 1-line block ×6, first 2 shown]
	v_fma_f64 v[150:151], v[102:103], s[22:23], -v[106:107]
	v_fma_f64 v[152:153], v[104:105], s[22:23], v[108:109]
	v_mul_f64 v[98:99], v[154:155], s[34:35]
	v_mul_f64 v[100:101], v[156:157], s[34:35]
	v_fma_f64 v[106:107], v[102:103], s[22:23], v[106:107]
	v_fma_f64 v[108:109], v[104:105], s[22:23], -v[108:109]
	v_mul_f64 v[162:163], v[154:155], s[46:47]
	v_mul_f64 v[164:165], v[156:157], s[46:47]
	v_add_f64 v[134:135], v[150:151], v[134:135]
	v_add_f64 v[136:137], v[152:153], v[136:137]
	v_mul_f64 v[150:151], v[154:155], s[28:29]
	v_mul_f64 v[152:153], v[156:157], s[28:29]
	v_fma_f64 v[158:159], v[102:103], s[2:3], -v[98:99]
	v_fma_f64 v[160:161], v[104:105], s[2:3], v[100:101]
	v_add_f64 v[106:107], v[106:107], v[110:111]
	v_add_f64 v[108:109], v[108:109], v[112:113]
	v_fma_f64 v[98:99], v[102:103], s[2:3], v[98:99]
	v_fma_f64 v[100:101], v[104:105], s[2:3], -v[100:101]
	v_fma_f64 v[110:111], v[102:103], s[12:13], -v[150:151]
	v_fma_f64 v[112:113], v[104:105], s[12:13], v[152:153]
	v_add_f64 v[158:159], v[158:159], v[166:167]
	v_add_f64 v[160:161], v[160:161], v[168:169]
	v_lshl_add_u32 v188, v92, 4, v185
	v_add_f64 v[98:99], v[98:99], v[114:115]
	v_add_f64 v[100:101], v[100:101], v[116:117]
	;; [unrolled: 1-line block ×4, first 2 shown]
	v_fma_f64 v[114:115], v[102:103], s[12:13], v[150:151]
	v_fma_f64 v[116:117], v[104:105], s[12:13], -v[152:153]
	v_fma_f64 v[122:123], v[102:103], s[26:27], -v[162:163]
	v_fma_f64 v[124:125], v[104:105], s[26:27], v[164:165]
	v_mul_f64 v[150:151], v[154:155], s[38:39]
	v_mul_f64 v[152:153], v[156:157], s[38:39]
	v_fma_f64 v[162:163], v[102:103], s[26:27], v[162:163]
	v_fma_f64 v[164:165], v[104:105], s[26:27], -v[164:165]
	v_add_f64 v[114:115], v[114:115], v[130:131]
	v_add_f64 v[116:117], v[116:117], v[132:133]
	;; [unrolled: 1-line block ×4, first 2 shown]
	v_fma_f64 v[126:127], v[102:103], s[18:19], -v[150:151]
	v_fma_f64 v[128:129], v[104:105], s[18:19], v[152:153]
	v_add_f64 v[130:131], v[162:163], v[142:143]
	v_add_f64 v[132:133], v[164:165], v[144:145]
	v_fma_f64 v[142:143], v[102:103], s[18:19], v[150:151]
	v_fma_f64 v[144:145], v[104:105], s[18:19], -v[152:153]
	v_mul_f64 v[150:151], v[154:155], s[20:21]
	v_mul_f64 v[152:153], v[156:157], s[20:21]
	v_add_f64 v[126:127], v[126:127], v[138:139]
	v_add_f64 v[128:129], v[128:129], v[140:141]
	v_add_f64 v[138:139], v[86:87], -v[90:91]
	v_add_f64 v[140:141], v[84:85], -v[88:89]
	v_add_f64 v[142:143], v[142:143], v[146:147]
	v_add_f64 v[144:145], v[144:145], v[148:149]
	v_fma_f64 v[146:147], v[102:103], s[16:17], -v[150:151]
	v_fma_f64 v[148:149], v[104:105], s[16:17], v[152:153]
	v_add_f64 v[154:155], v[84:85], v[88:89]
	v_add_f64 v[156:157], v[86:87], v[90:91]
	v_mul_f64 v[84:85], v[138:139], s[30:31]
	v_mul_f64 v[86:87], v[140:141], s[30:31]
	v_fma_f64 v[88:89], v[102:103], s[16:17], v[150:151]
	v_fma_f64 v[90:91], v[104:105], s[16:17], -v[152:153]
	v_add_f64 v[146:147], v[146:147], v[118:119]
	v_add_f64 v[148:149], v[148:149], v[120:121]
	v_mul_f64 v[102:103], v[138:139], s[38:39]
	v_mul_f64 v[104:105], v[140:141], s[38:39]
	v_fma_f64 v[118:119], v[154:155], s[26:27], -v[84:85]
	v_fma_f64 v[120:121], v[156:157], s[26:27], v[86:87]
	v_add_f64 v[150:151], v[88:89], v[94:95]
	v_add_f64 v[152:153], v[90:91], v[96:97]
	v_fma_f64 v[88:89], v[154:155], s[26:27], v[84:85]
	v_fma_f64 v[90:91], v[156:157], s[26:27], -v[86:87]
	v_fma_f64 v[94:95], v[154:155], s[18:19], -v[102:103]
	v_fma_f64 v[96:97], v[156:157], s[18:19], v[104:105]
	v_add_f64 v[84:85], v[118:119], v[134:135]
	v_add_f64 v[86:87], v[120:121], v[136:137]
	v_mul_f64 v[118:119], v[138:139], s[24:25]
	v_mul_f64 v[120:121], v[140:141], s[24:25]
	v_add_f64 v[88:89], v[88:89], v[106:107]
	v_add_f64 v[90:91], v[90:91], v[108:109]
	v_fma_f64 v[102:103], v[154:155], s[18:19], v[102:103]
	v_fma_f64 v[104:105], v[156:157], s[18:19], -v[104:105]
	v_mul_f64 v[134:135], v[138:139], s[40:41]
	v_mul_f64 v[136:137], v[140:141], s[40:41]
	v_fma_f64 v[106:107], v[154:155], s[22:23], -v[118:119]
	v_fma_f64 v[108:109], v[156:157], s[22:23], v[120:121]
	v_fma_f64 v[118:119], v[154:155], s[22:23], v[118:119]
	v_fma_f64 v[120:121], v[156:157], s[22:23], -v[120:121]
	v_add_f64 v[98:99], v[102:103], v[98:99]
	v_add_f64 v[100:101], v[104:105], v[100:101]
	;; [unrolled: 1-line block ×6, first 2 shown]
	v_fma_f64 v[110:111], v[154:155], s[12:13], -v[134:135]
	v_fma_f64 v[112:113], v[156:157], s[12:13], v[136:137]
	v_add_f64 v[106:107], v[118:119], v[114:115]
	v_add_f64 v[108:109], v[120:121], v[116:117]
	v_fma_f64 v[114:115], v[154:155], s[12:13], v[134:135]
	v_fma_f64 v[116:117], v[156:157], s[12:13], -v[136:137]
	v_mul_f64 v[118:119], v[138:139], s[20:21]
	v_mul_f64 v[120:121], v[140:141], s[20:21]
	v_add_f64 v[110:111], v[110:111], v[122:123]
	v_add_f64 v[112:113], v[112:113], v[124:125]
	v_mul_f64 v[122:123], v[138:139], s[34:35]
	v_mul_f64 v[124:125], v[140:141], s[34:35]
	v_add_f64 v[114:115], v[114:115], v[130:131]
	v_add_f64 v[116:117], v[116:117], v[132:133]
	v_fma_f64 v[130:131], v[154:155], s[16:17], -v[118:119]
	v_fma_f64 v[132:133], v[156:157], s[16:17], v[120:121]
	v_fma_f64 v[134:135], v[154:155], s[16:17], v[118:119]
	v_fma_f64 v[136:137], v[156:157], s[16:17], -v[120:121]
	v_fma_f64 v[138:139], v[154:155], s[2:3], -v[122:123]
	v_fma_f64 v[140:141], v[156:157], s[2:3], v[124:125]
	v_fma_f64 v[154:155], v[154:155], s[2:3], v[122:123]
	v_fma_f64 v[156:157], v[156:157], s[2:3], -v[124:125]
	v_add_f64 v[118:119], v[130:131], v[126:127]
	v_add_f64 v[120:121], v[132:133], v[128:129]
	;; [unrolled: 1-line block ×8, first 2 shown]
	ds_write_b128 v188, v[80:83]
	ds_write_b128 v188, v[84:87] offset:112
	ds_write_b128 v188, v[94:97] offset:224
	;; [unrolled: 1-line block ×12, first 2 shown]
	v_mov_b32_e32 v81, s5
	v_mov_b32_e32 v80, s4
	v_mad_u64_u32 v[104:105], s[4:5], v184, s14, v[80:81]
	s_waitcnt lgkmcnt(0)
	s_barrier
	global_load_dwordx4 v[112:115], v[104:105], off offset:1344
	global_load_dwordx4 v[108:111], v[104:105], off offset:1360
	;; [unrolled: 1-line block ×11, first 2 shown]
	ds_read_b128 v[128:131], v183 offset:1456
	ds_read_b128 v[132:135], v183 offset:2912
	global_load_dwordx4 v[104:107], v[104:105], off offset:1504
	ds_read_b128 v[136:139], v183 offset:4368
	s_movk_i32 s4, 0x4000
	s_waitcnt vmcnt(11) lgkmcnt(2)
	v_mul_f64 v[140:141], v[130:131], v[114:115]
	v_mul_f64 v[142:143], v[128:129], v[114:115]
	s_waitcnt vmcnt(10) lgkmcnt(1)
	v_mul_f64 v[144:145], v[134:135], v[110:111]
	v_mul_f64 v[146:147], v[132:133], v[110:111]
	v_fma_f64 v[164:165], v[128:129], v[112:113], -v[140:141]
	v_fma_f64 v[166:167], v[130:131], v[112:113], v[142:143]
	ds_read_b128 v[140:143], v183
	v_fma_f64 v[168:169], v[132:133], v[108:109], -v[144:145]
	v_fma_f64 v[170:171], v[134:135], v[108:109], v[146:147]
	s_waitcnt vmcnt(9) lgkmcnt(1)
	v_mul_f64 v[144:145], v[138:139], v[86:87]
	v_mul_f64 v[148:149], v[136:137], v[86:87]
	ds_read_b128 v[128:131], v183 offset:5824
	ds_read_b128 v[132:135], v183 offset:7280
	s_waitcnt lgkmcnt(2)
	v_add_f64 v[146:147], v[140:141], v[164:165]
	v_add_f64 v[150:151], v[142:143], v[166:167]
	s_waitcnt vmcnt(8) lgkmcnt(1)
	v_mul_f64 v[152:153], v[130:131], v[82:83]
	v_mul_f64 v[154:155], v[128:129], v[82:83]
	v_fma_f64 v[172:173], v[136:137], v[84:85], -v[144:145]
	v_fma_f64 v[138:139], v[138:139], v[84:85], v[148:149]
	s_waitcnt vmcnt(7) lgkmcnt(0)
	v_mul_f64 v[148:149], v[134:135], v[102:103]
	v_add_f64 v[136:137], v[146:147], v[168:169]
	v_add_f64 v[144:145], v[150:151], v[170:171]
	v_fma_f64 v[174:175], v[128:129], v[80:81], -v[152:153]
	v_fma_f64 v[176:177], v[130:131], v[80:81], v[154:155]
	v_mul_f64 v[152:153], v[132:133], v[102:103]
	ds_read_b128 v[128:131], v183 offset:8736
	v_add_f64 v[150:151], v[136:137], v[172:173]
	v_add_f64 v[154:155], v[144:145], v[138:139]
	ds_read_b128 v[144:147], v183 offset:10192
	s_waitcnt vmcnt(6) lgkmcnt(1)
	v_mul_f64 v[156:157], v[130:131], v[98:99]
	v_mul_f64 v[158:159], v[128:129], v[98:99]
	v_fma_f64 v[136:137], v[132:133], v[100:101], -v[148:149]
	v_fma_f64 v[178:179], v[134:135], v[100:101], v[152:153]
	v_add_f64 v[132:133], v[150:151], v[174:175]
	v_add_f64 v[134:135], v[154:155], v[176:177]
	ds_read_b128 v[148:151], v183 offset:11648
	ds_read_b128 v[152:155], v183 offset:13104
	v_fma_f64 v[128:129], v[128:129], v[96:97], -v[156:157]
	s_waitcnt vmcnt(5) lgkmcnt(2)
	v_mul_f64 v[156:157], v[146:147], v[94:95]
	v_fma_f64 v[130:131], v[130:131], v[96:97], v[158:159]
	v_mul_f64 v[158:159], v[144:145], v[94:95]
	v_add_f64 v[160:161], v[132:133], v[136:137]
	v_add_f64 v[162:163], v[134:135], v[178:179]
	s_waitcnt vmcnt(4) lgkmcnt(1)
	v_mul_f64 v[189:190], v[150:151], v[90:91]
	v_mul_f64 v[191:192], v[148:149], v[90:91]
	v_fma_f64 v[132:133], v[144:145], v[92:93], -v[156:157]
	v_fma_f64 v[134:135], v[146:147], v[92:93], v[158:159]
	v_add_f64 v[193:194], v[160:161], v[128:129]
	v_add_f64 v[195:196], v[162:163], v[130:131]
	v_fma_f64 v[148:149], v[148:149], v[88:89], -v[189:190]
	v_fma_f64 v[150:151], v[150:151], v[88:89], v[191:192]
	s_waitcnt vmcnt(3) lgkmcnt(0)
	v_mul_f64 v[189:190], v[154:155], v[126:127]
	v_mul_f64 v[191:192], v[152:153], v[126:127]
	ds_read_b128 v[144:147], v183 offset:14560
	ds_read_b128 v[156:159], v183 offset:16016
	;; [unrolled: 1-line block ×3, first 2 shown]
	v_add_f64 v[193:194], v[193:194], v[132:133]
	v_add_f64 v[195:196], v[195:196], v[134:135]
	s_waitcnt vmcnt(2) lgkmcnt(2)
	v_mul_f64 v[197:198], v[146:147], v[122:123]
	v_mul_f64 v[199:200], v[144:145], v[122:123]
	v_fma_f64 v[189:190], v[152:153], v[124:125], -v[189:190]
	v_fma_f64 v[191:192], v[154:155], v[124:125], v[191:192]
	s_waitcnt vmcnt(1) lgkmcnt(0)
	v_mul_f64 v[201:202], v[160:161], v[118:119]
	v_mul_f64 v[203:204], v[162:163], v[118:119]
	v_add_f64 v[152:153], v[193:194], v[148:149]
	v_add_f64 v[154:155], v[195:196], v[150:151]
	v_fma_f64 v[144:145], v[144:145], v[120:121], -v[197:198]
	v_fma_f64 v[146:147], v[146:147], v[120:121], v[199:200]
	s_waitcnt vmcnt(0)
	v_mul_f64 v[193:194], v[158:159], v[106:107]
	v_mul_f64 v[195:196], v[156:157], v[106:107]
	v_fma_f64 v[162:163], v[162:163], v[116:117], v[201:202]
	v_fma_f64 v[160:161], v[160:161], v[116:117], -v[203:204]
	v_add_f64 v[152:153], v[152:153], v[189:190]
	v_add_f64 v[154:155], v[154:155], v[191:192]
	v_fma_f64 v[193:194], v[156:157], v[104:105], -v[193:194]
	v_fma_f64 v[157:158], v[158:159], v[104:105], v[195:196]
	v_add_f64 v[197:198], v[166:167], -v[162:163]
	v_add_f64 v[199:200], v[164:165], -v[160:161]
	v_add_f64 v[152:153], v[152:153], v[144:145]
	v_add_f64 v[154:155], v[154:155], v[146:147]
	;; [unrolled: 1-line block ×4, first 2 shown]
	v_add_f64 v[237:238], v[168:169], -v[193:194]
	v_add_f64 v[235:236], v[170:171], -v[157:158]
	v_mul_f64 v[195:196], v[197:198], s[44:45]
	v_mul_f64 v[201:202], v[199:200], s[44:45]
	v_add_f64 v[152:153], v[152:153], v[193:194]
	v_add_f64 v[154:155], v[154:155], v[157:158]
	v_mul_f64 v[207:208], v[197:198], s[36:37]
	v_mul_f64 v[209:210], v[199:200], s[36:37]
	;; [unrolled: 1-line block ×6, first 2 shown]
	v_add_f64 v[152:153], v[152:153], v[160:161]
	v_add_f64 v[154:155], v[154:155], v[162:163]
	v_mul_f64 v[159:160], v[197:198], s[28:29]
	v_mul_f64 v[161:162], v[199:200], s[28:29]
	;; [unrolled: 1-line block ×4, first 2 shown]
	v_fma_f64 v[203:204], v[164:165], s[18:19], -v[195:196]
	v_fma_f64 v[205:206], v[166:167], s[18:19], v[201:202]
	v_fma_f64 v[195:196], v[164:165], s[18:19], v[195:196]
	v_fma_f64 v[201:202], v[166:167], s[18:19], -v[201:202]
	v_fma_f64 v[211:212], v[164:165], s[12:13], -v[159:160]
	v_fma_f64 v[213:214], v[166:167], s[12:13], v[161:162]
	v_fma_f64 v[159:160], v[164:165], s[12:13], v[159:160]
	v_fma_f64 v[161:162], v[166:167], s[12:13], -v[161:162]
	;; [unrolled: 4-line block ×5, first 2 shown]
	v_add_f64 v[168:169], v[168:169], v[193:194]
	v_add_f64 v[157:158], v[170:171], v[157:158]
	v_mul_f64 v[170:171], v[235:236], s[28:29]
	v_mul_f64 v[193:194], v[237:238], s[28:29]
	v_fma_f64 v[239:240], v[164:165], s[26:27], -v[197:198]
	v_fma_f64 v[241:242], v[166:167], s[26:27], v[199:200]
	v_fma_f64 v[163:164], v[164:165], s[26:27], v[197:198]
	v_fma_f64 v[165:166], v[166:167], s[26:27], -v[199:200]
	v_add_f64 v[203:204], v[140:141], v[203:204]
	v_add_f64 v[205:206], v[142:143], v[205:206]
	;; [unrolled: 1-line block ×20, first 2 shown]
	v_fma_f64 v[223:224], v[168:169], s[12:13], -v[170:171]
	v_fma_f64 v[225:226], v[157:158], s[12:13], v[193:194]
	v_add_f64 v[239:240], v[140:141], v[239:240]
	v_add_f64 v[241:242], v[142:143], v[241:242]
	;; [unrolled: 1-line block ×4, first 2 shown]
	v_mul_f64 v[163:164], v[235:236], s[20:21]
	v_mul_f64 v[165:166], v[237:238], s[20:21]
	v_add_f64 v[203:204], v[223:224], v[203:204]
	v_add_f64 v[205:206], v[225:226], v[205:206]
	v_fma_f64 v[170:171], v[168:169], s[12:13], v[170:171]
	v_fma_f64 v[193:194], v[157:158], s[12:13], -v[193:194]
	v_mul_f64 v[223:224], v[235:236], s[30:31]
	v_mul_f64 v[225:226], v[237:238], s[30:31]
	v_fma_f64 v[243:244], v[168:169], s[16:17], -v[163:164]
	v_fma_f64 v[245:246], v[157:158], s[16:17], v[165:166]
	v_fma_f64 v[163:164], v[168:169], s[16:17], v[163:164]
	v_fma_f64 v[165:166], v[157:158], s[16:17], -v[165:166]
	v_add_f64 v[170:171], v[170:171], v[195:196]
	v_add_f64 v[193:194], v[193:194], v[201:202]
	v_fma_f64 v[195:196], v[168:169], s[26:27], -v[223:224]
	v_fma_f64 v[201:202], v[157:158], s[26:27], v[225:226]
	v_add_f64 v[211:212], v[243:244], v[211:212]
	v_add_f64 v[213:214], v[245:246], v[213:214]
	;; [unrolled: 1-line block ×4, first 2 shown]
	v_mul_f64 v[163:164], v[235:236], s[42:43]
	v_mul_f64 v[165:166], v[237:238], s[42:43]
	v_add_f64 v[195:196], v[195:196], v[215:216]
	v_add_f64 v[201:202], v[201:202], v[217:218]
	v_mul_f64 v[215:216], v[235:236], s[34:35]
	v_mul_f64 v[217:218], v[237:238], s[34:35]
	v_fma_f64 v[223:224], v[168:169], s[26:27], v[223:224]
	v_fma_f64 v[225:226], v[157:158], s[26:27], -v[225:226]
	v_fma_f64 v[243:244], v[168:169], s[22:23], -v[163:164]
	v_fma_f64 v[245:246], v[157:158], s[22:23], v[165:166]
	v_fma_f64 v[163:164], v[168:169], s[22:23], v[163:164]
	v_fma_f64 v[165:166], v[157:158], s[22:23], -v[165:166]
	v_fma_f64 v[247:248], v[168:169], s[2:3], -v[215:216]
	v_fma_f64 v[249:250], v[157:158], s[2:3], v[217:218]
	v_add_f64 v[207:208], v[223:224], v[207:208]
	v_add_f64 v[209:210], v[225:226], v[209:210]
	;; [unrolled: 1-line block ×4, first 2 shown]
	v_add_f64 v[227:228], v[138:139], -v[146:147]
	v_add_f64 v[229:230], v[172:173], -v[144:145]
	v_add_f64 v[163:164], v[163:164], v[219:220]
	v_add_f64 v[165:166], v[165:166], v[221:222]
	v_add_f64 v[219:220], v[247:248], v[231:232]
	v_add_f64 v[221:222], v[249:250], v[233:234]
	v_mul_f64 v[231:232], v[235:236], s[38:39]
	v_mul_f64 v[233:234], v[237:238], s[38:39]
	v_fma_f64 v[215:216], v[168:169], s[2:3], v[215:216]
	v_fma_f64 v[217:218], v[157:158], s[2:3], -v[217:218]
	v_add_f64 v[144:145], v[172:173], v[144:145]
	v_add_f64 v[138:139], v[138:139], v[146:147]
	v_mul_f64 v[146:147], v[227:228], s[36:37]
	v_mul_f64 v[172:173], v[229:230], s[36:37]
	v_fma_f64 v[235:236], v[168:169], s[18:19], -v[231:232]
	v_fma_f64 v[237:238], v[157:158], s[18:19], v[233:234]
	v_fma_f64 v[167:168], v[168:169], s[18:19], v[231:232]
	v_fma_f64 v[157:158], v[157:158], s[18:19], -v[233:234]
	v_add_f64 v[197:198], v[215:216], v[197:198]
	v_add_f64 v[199:200], v[217:218], v[199:200]
	v_fma_f64 v[215:216], v[144:145], s[2:3], -v[146:147]
	v_fma_f64 v[217:218], v[138:139], s[2:3], v[172:173]
	v_fma_f64 v[146:147], v[144:145], s[2:3], v[146:147]
	v_fma_f64 v[172:173], v[138:139], s[2:3], -v[172:173]
	v_add_f64 v[140:141], v[167:168], v[140:141]
	v_add_f64 v[142:143], v[157:158], v[142:143]
	v_mul_f64 v[157:158], v[227:228], s[30:31]
	v_mul_f64 v[167:168], v[229:230], s[30:31]
	v_add_f64 v[203:204], v[215:216], v[203:204]
	v_add_f64 v[205:206], v[217:218], v[205:206]
	v_mul_f64 v[215:216], v[227:228], s[48:49]
	v_mul_f64 v[217:218], v[229:230], s[48:49]
	v_add_f64 v[231:232], v[235:236], v[239:240]
	v_add_f64 v[233:234], v[237:238], v[241:242]
	v_fma_f64 v[235:236], v[144:145], s[26:27], -v[157:158]
	v_fma_f64 v[237:238], v[138:139], s[26:27], v[167:168]
	v_fma_f64 v[157:158], v[144:145], s[26:27], v[157:158]
	v_fma_f64 v[167:168], v[138:139], s[26:27], -v[167:168]
	v_add_f64 v[146:147], v[146:147], v[170:171]
	v_add_f64 v[169:170], v[172:173], v[193:194]
	v_fma_f64 v[171:172], v[144:145], s[16:17], -v[215:216]
	v_fma_f64 v[193:194], v[138:139], s[16:17], v[217:218]
	v_add_f64 v[211:212], v[235:236], v[211:212]
	v_add_f64 v[213:214], v[237:238], v[213:214]
	;; [unrolled: 1-line block ×4, first 2 shown]
	v_mul_f64 v[161:162], v[227:228], s[38:39]
	v_mul_f64 v[167:168], v[229:230], s[38:39]
	v_add_f64 v[171:172], v[171:172], v[195:196]
	v_add_f64 v[193:194], v[193:194], v[201:202]
	v_mul_f64 v[195:196], v[227:228], s[28:29]
	v_mul_f64 v[201:202], v[229:230], s[28:29]
	v_fma_f64 v[215:216], v[144:145], s[16:17], v[215:216]
	v_fma_f64 v[217:218], v[138:139], s[16:17], -v[217:218]
	v_fma_f64 v[235:236], v[144:145], s[18:19], -v[161:162]
	v_fma_f64 v[237:238], v[138:139], s[18:19], v[167:168]
	v_fma_f64 v[161:162], v[144:145], s[18:19], v[161:162]
	v_fma_f64 v[167:168], v[138:139], s[18:19], -v[167:168]
	v_fma_f64 v[239:240], v[144:145], s[12:13], -v[195:196]
	v_fma_f64 v[241:242], v[138:139], s[12:13], v[201:202]
	v_add_f64 v[207:208], v[215:216], v[207:208]
	v_add_f64 v[209:210], v[217:218], v[209:210]
	;; [unrolled: 1-line block ×8, first 2 shown]
	v_add_f64 v[219:220], v[176:177], -v[191:192]
	v_add_f64 v[221:222], v[174:175], -v[189:190]
	v_mul_f64 v[223:224], v[227:228], s[24:25]
	v_mul_f64 v[225:226], v[229:230], s[24:25]
	v_fma_f64 v[195:196], v[144:145], s[12:13], v[195:196]
	v_fma_f64 v[201:202], v[138:139], s[12:13], -v[201:202]
	v_add_f64 v[173:174], v[174:175], v[189:190]
	v_add_f64 v[175:176], v[176:177], v[191:192]
	v_mul_f64 v[189:190], v[219:220], s[20:21]
	v_mul_f64 v[191:192], v[221:222], s[20:21]
	v_fma_f64 v[227:228], v[144:145], s[22:23], -v[223:224]
	v_fma_f64 v[229:230], v[138:139], s[22:23], v[225:226]
	v_fma_f64 v[144:145], v[144:145], s[22:23], v[223:224]
	v_fma_f64 v[138:139], v[138:139], s[22:23], -v[225:226]
	v_add_f64 v[195:196], v[195:196], v[197:198]
	v_add_f64 v[197:198], v[201:202], v[199:200]
	v_fma_f64 v[199:200], v[173:174], s[16:17], -v[189:190]
	v_fma_f64 v[201:202], v[175:176], s[16:17], v[191:192]
	v_fma_f64 v[189:190], v[173:174], s[16:17], v[189:190]
	v_fma_f64 v[191:192], v[175:176], s[16:17], -v[191:192]
	v_add_f64 v[140:141], v[144:145], v[140:141]
	v_add_f64 v[138:139], v[138:139], v[142:143]
	v_mul_f64 v[142:143], v[219:220], s[42:43]
	v_mul_f64 v[144:145], v[221:222], s[42:43]
	v_add_f64 v[199:200], v[199:200], v[203:204]
	v_add_f64 v[201:202], v[201:202], v[205:206]
	v_mul_f64 v[203:204], v[219:220], s[38:39]
	v_mul_f64 v[205:206], v[221:222], s[38:39]
	v_add_f64 v[223:224], v[227:228], v[231:232]
	v_add_f64 v[225:226], v[229:230], v[233:234]
	v_fma_f64 v[227:228], v[173:174], s[22:23], -v[142:143]
	v_fma_f64 v[229:230], v[175:176], s[22:23], v[144:145]
	v_fma_f64 v[142:143], v[173:174], s[22:23], v[142:143]
	v_fma_f64 v[144:145], v[175:176], s[22:23], -v[144:145]
	v_add_f64 v[146:147], v[189:190], v[146:147]
	v_add_f64 v[169:170], v[191:192], v[169:170]
	v_fma_f64 v[189:190], v[173:174], s[18:19], -v[203:204]
	v_fma_f64 v[191:192], v[175:176], s[18:19], v[205:206]
	v_add_f64 v[211:212], v[227:228], v[211:212]
	v_add_f64 v[213:214], v[229:230], v[213:214]
	;; [unrolled: 1-line block ×4, first 2 shown]
	v_mul_f64 v[157:158], v[219:220], s[36:37]
	v_mul_f64 v[159:160], v[221:222], s[36:37]
	v_add_f64 v[171:172], v[189:190], v[171:172]
	v_add_f64 v[189:190], v[191:192], v[193:194]
	v_fma_f64 v[191:192], v[173:174], s[18:19], v[203:204]
	v_fma_f64 v[193:194], v[175:176], s[18:19], -v[205:206]
	v_mul_f64 v[203:204], v[219:220], s[46:47]
	v_mul_f64 v[205:206], v[221:222], s[46:47]
	v_fma_f64 v[227:228], v[173:174], s[2:3], -v[157:158]
	v_fma_f64 v[229:230], v[175:176], s[2:3], v[159:160]
	v_fma_f64 v[157:158], v[173:174], s[2:3], v[157:158]
	v_fma_f64 v[159:160], v[175:176], s[2:3], -v[159:160]
	v_add_f64 v[191:192], v[191:192], v[207:208]
	v_add_f64 v[193:194], v[193:194], v[209:210]
	v_fma_f64 v[207:208], v[173:174], s[26:27], -v[203:204]
	v_fma_f64 v[209:210], v[175:176], s[26:27], v[205:206]
	v_fma_f64 v[203:204], v[173:174], s[26:27], v[203:204]
	v_fma_f64 v[205:206], v[175:176], s[26:27], -v[205:206]
	v_add_f64 v[157:158], v[157:158], v[161:162]
	v_add_f64 v[159:160], v[159:160], v[163:164]
	v_mul_f64 v[161:162], v[219:220], s[40:41]
	v_mul_f64 v[163:164], v[221:222], s[40:41]
	v_add_f64 v[165:166], v[207:208], v[165:166]
	v_add_f64 v[167:168], v[209:210], v[167:168]
	v_add_f64 v[207:208], v[178:179], -v[150:151]
	v_add_f64 v[209:210], v[136:137], -v[148:149]
	v_add_f64 v[136:137], v[136:137], v[148:149]
	v_add_f64 v[148:149], v[178:179], v[150:151]
	v_fma_f64 v[219:220], v[173:174], s[12:13], -v[161:162]
	v_fma_f64 v[221:222], v[175:176], s[12:13], v[163:164]
	v_fma_f64 v[161:162], v[173:174], s[12:13], v[161:162]
	v_fma_f64 v[163:164], v[175:176], s[12:13], -v[163:164]
	v_mul_f64 v[150:151], v[207:208], s[24:25]
	v_mul_f64 v[177:178], v[209:210], s[24:25]
	v_add_f64 v[173:174], v[203:204], v[195:196]
	v_add_f64 v[175:176], v[205:206], v[197:198]
	;; [unrolled: 1-line block ×6, first 2 shown]
	v_fma_f64 v[203:204], v[136:137], s[22:23], -v[150:151]
	v_fma_f64 v[205:206], v[148:149], s[22:23], v[177:178]
	v_mul_f64 v[161:162], v[207:208], s[34:35]
	v_mul_f64 v[163:164], v[209:210], s[34:35]
	v_fma_f64 v[150:151], v[136:137], s[22:23], v[150:151]
	v_fma_f64 v[177:178], v[148:149], s[22:23], -v[177:178]
	v_add_f64 v[215:216], v[227:228], v[215:216]
	v_add_f64 v[217:218], v[229:230], v[217:218]
	;; [unrolled: 1-line block ×4, first 2 shown]
	v_mul_f64 v[203:204], v[207:208], s[28:29]
	v_mul_f64 v[205:206], v[209:210], s[28:29]
	v_fma_f64 v[219:220], v[136:137], s[2:3], -v[161:162]
	v_fma_f64 v[221:222], v[148:149], s[2:3], v[163:164]
	v_add_f64 v[146:147], v[150:151], v[146:147]
	v_add_f64 v[150:151], v[177:178], v[169:170]
	v_fma_f64 v[161:162], v[136:137], s[2:3], v[161:162]
	v_fma_f64 v[163:164], v[148:149], s[2:3], -v[163:164]
	v_fma_f64 v[169:170], v[136:137], s[12:13], -v[203:204]
	v_fma_f64 v[177:178], v[148:149], s[12:13], v[205:206]
	v_add_f64 v[211:212], v[219:220], v[211:212]
	v_add_f64 v[213:214], v[221:222], v[213:214]
	v_mul_f64 v[219:220], v[207:208], s[46:47]
	v_mul_f64 v[221:222], v[209:210], s[46:47]
	v_add_f64 v[142:143], v[161:162], v[142:143]
	v_add_f64 v[144:145], v[163:164], v[144:145]
	;; [unrolled: 1-line block ×4, first 2 shown]
	v_fma_f64 v[161:162], v[136:137], s[12:13], v[203:204]
	v_fma_f64 v[163:164], v[148:149], s[12:13], -v[205:206]
	v_fma_f64 v[177:178], v[136:137], s[26:27], -v[219:220]
	v_fma_f64 v[189:190], v[148:149], s[26:27], v[221:222]
	v_mul_f64 v[203:204], v[207:208], s[38:39]
	v_mul_f64 v[205:206], v[209:210], s[38:39]
	v_fma_f64 v[219:220], v[136:137], s[26:27], v[219:220]
	v_fma_f64 v[221:222], v[148:149], s[26:27], -v[221:222]
	v_add_f64 v[191:192], v[161:162], v[191:192]
	v_add_f64 v[193:194], v[163:164], v[193:194]
	;; [unrolled: 1-line block ×4, first 2 shown]
	v_fma_f64 v[161:162], v[136:137], s[18:19], -v[203:204]
	v_fma_f64 v[163:164], v[148:149], s[18:19], v[205:206]
	v_add_f64 v[215:216], v[219:220], v[157:158]
	v_add_f64 v[217:218], v[221:222], v[159:160]
	v_fma_f64 v[157:158], v[136:137], s[18:19], v[203:204]
	v_fma_f64 v[159:160], v[148:149], s[18:19], -v[205:206]
	v_mul_f64 v[203:204], v[207:208], s[20:21]
	v_mul_f64 v[205:206], v[209:210], s[20:21]
	v_add_f64 v[219:220], v[130:131], -v[134:135]
	v_add_f64 v[221:222], v[128:129], -v[132:133]
	v_add_f64 v[207:208], v[161:162], v[165:166]
	v_add_f64 v[209:210], v[163:164], v[167:168]
	;; [unrolled: 1-line block ×4, first 2 shown]
	v_fma_f64 v[157:158], v[136:137], s[16:17], -v[203:204]
	v_fma_f64 v[159:160], v[148:149], s[16:17], v[205:206]
	v_add_f64 v[132:133], v[128:129], v[132:133]
	v_add_f64 v[134:135], v[130:131], v[134:135]
	v_mul_f64 v[128:129], v[219:220], s[30:31]
	v_fma_f64 v[136:137], v[136:137], s[16:17], v[203:204]
	v_fma_f64 v[148:149], v[148:149], s[16:17], -v[205:206]
	v_mul_f64 v[165:166], v[219:220], s[38:39]
	v_mul_f64 v[167:168], v[221:222], s[38:39]
	;; [unrolled: 1-line block ×3, first 2 shown]
	v_add_f64 v[195:196], v[157:158], v[195:196]
	v_add_f64 v[197:198], v[159:160], v[197:198]
	v_fma_f64 v[157:158], v[132:133], s[26:27], -v[128:129]
	v_add_f64 v[203:204], v[136:137], v[140:141]
	v_add_f64 v[205:206], v[148:149], v[138:139]
	v_fma_f64 v[128:129], v[132:133], s[26:27], v[128:129]
	v_fma_f64 v[136:137], v[132:133], s[18:19], -v[165:166]
	v_fma_f64 v[138:139], v[134:135], s[18:19], v[167:168]
	v_mul_f64 v[140:141], v[219:220], s[24:25]
	v_fma_f64 v[159:160], v[134:135], s[26:27], v[130:131]
	v_fma_f64 v[130:131], v[134:135], s[26:27], -v[130:131]
	v_mul_f64 v[148:149], v[221:222], s[24:25]
	v_mul_f64 v[173:174], v[219:220], s[40:41]
	v_add_f64 v[128:129], v[128:129], v[146:147]
	v_add_f64 v[161:162], v[136:137], v[211:212]
	;; [unrolled: 1-line block ×3, first 2 shown]
	v_fma_f64 v[136:137], v[132:133], s[18:19], v[165:166]
	v_fma_f64 v[138:139], v[134:135], s[18:19], -v[167:168]
	v_fma_f64 v[146:147], v[132:133], s[22:23], -v[140:141]
	v_mul_f64 v[175:176], v[221:222], s[40:41]
	v_add_f64 v[130:131], v[130:131], v[150:151]
	v_fma_f64 v[150:151], v[134:135], s[22:23], v[148:149]
	v_fma_f64 v[148:149], v[134:135], s[22:23], -v[148:149]
	v_add_f64 v[157:158], v[157:158], v[199:200]
	v_fma_f64 v[199:200], v[132:133], s[22:23], v[140:141]
	v_add_f64 v[140:141], v[136:137], v[142:143]
	v_add_f64 v[142:143], v[138:139], v[144:145]
	;; [unrolled: 1-line block ×3, first 2 shown]
	v_fma_f64 v[144:145], v[132:133], s[12:13], -v[173:174]
	v_fma_f64 v[146:147], v[134:135], s[12:13], v[175:176]
	v_add_f64 v[167:168], v[150:151], v[171:172]
	v_add_f64 v[138:139], v[148:149], v[193:194]
	v_fma_f64 v[148:149], v[132:133], s[12:13], v[173:174]
	v_fma_f64 v[150:151], v[134:135], s[12:13], -v[175:176]
	v_mul_f64 v[173:174], v[219:220], s[20:21]
	v_mul_f64 v[175:176], v[221:222], s[20:21]
	v_add_f64 v[169:170], v[144:145], v[177:178]
	v_add_f64 v[171:172], v[146:147], v[189:190]
	v_mul_f64 v[177:178], v[219:220], s[34:35]
	v_mul_f64 v[189:190], v[221:222], s[34:35]
	v_add_f64 v[144:145], v[148:149], v[215:216]
	v_add_f64 v[146:147], v[150:151], v[217:218]
	v_fma_f64 v[148:149], v[132:133], s[16:17], -v[173:174]
	v_fma_f64 v[150:151], v[134:135], s[16:17], v[175:176]
	v_add_f64 v[159:160], v[159:160], v[201:202]
	v_add_f64 v[136:137], v[199:200], v[191:192]
	v_fma_f64 v[191:192], v[132:133], s[16:17], v[173:174]
	v_fma_f64 v[199:200], v[132:133], s[2:3], -v[177:178]
	v_fma_f64 v[201:202], v[134:135], s[2:3], v[189:190]
	v_fma_f64 v[193:194], v[134:135], s[16:17], -v[175:176]
	;; [unrolled: 2-line block ×3, first 2 shown]
	v_mov_b32_e32 v156, s15
	v_add_f64 v[173:174], v[148:149], v[207:208]
	v_add_f64 v[175:176], v[150:151], v[209:210]
	v_addc_co_u32_e64 v156, s[0:1], 0, v156, s[0:1]
	v_add_f64 v[148:149], v[191:192], v[223:224]
	v_add_f64 v[189:190], v[199:200], v[195:196]
	;; [unrolled: 1-line block ×5, first 2 shown]
	s_movk_i32 s0, 0x49f0
	v_add_f64 v[150:151], v[193:194], v[225:226]
	ds_write_b128 v183, v[152:155]
	ds_write_b128 v183, v[157:160] offset:1456
	ds_write_b128 v183, v[161:164] offset:2912
	;; [unrolled: 1-line block ×12, first 2 shown]
	v_add_co_u32_e64 v152, s[0:1], s0, v180
	v_addc_co_u32_e64 v153, s[0:1], 0, v156, s[0:1]
	v_add_co_u32_e64 v154, s[0:1], s4, v180
	v_addc_co_u32_e64 v155, s[0:1], 0, v156, s[0:1]
	s_movk_i32 s0, 0x5000
	s_waitcnt lgkmcnt(0)
	s_barrier
	global_load_dwordx4 v[157:160], v[154:155], off offset:2544
	global_load_dwordx4 v[161:164], v[152:153], off offset:2704
	v_add_co_u32_e64 v154, s[0:1], s0, v180
	v_addc_co_u32_e64 v155, s[0:1], 0, v156, s[0:1]
	global_load_dwordx4 v[165:168], v[154:155], off offset:3856
	s_movk_i32 s0, 0x6000
	v_add_co_u32_e64 v154, s[0:1], s0, v180
	v_addc_co_u32_e64 v155, s[0:1], 0, v156, s[0:1]
	s_movk_i32 s0, 0x7000
	global_load_dwordx4 v[169:172], v[154:155], off offset:2464
	v_add_co_u32_e64 v154, s[0:1], s0, v180
	v_addc_co_u32_e64 v155, s[0:1], 0, v156, s[0:1]
	s_mov_b32 s0, 0x8000
	global_load_dwordx4 v[173:176], v[154:155], off offset:1072
	global_load_dwordx4 v[189:192], v[154:155], off offset:3776
	v_add_co_u32_e64 v154, s[0:1], s0, v180
	v_addc_co_u32_e64 v155, s[0:1], 0, v156, s[0:1]
	global_load_dwordx4 v[193:196], v[154:155], off offset:2384
	ds_read_b128 v[197:200], v183
	ds_read_b128 v[201:204], v183 offset:2704
	ds_read_b128 v[205:208], v183 offset:5408
	;; [unrolled: 1-line block ×3, first 2 shown]
	s_waitcnt vmcnt(6) lgkmcnt(3)
	v_mul_f64 v[154:155], v[199:200], v[159:160]
	v_mul_f64 v[159:160], v[197:198], v[159:160]
	s_waitcnt vmcnt(5) lgkmcnt(2)
	v_mul_f64 v[177:178], v[203:204], v[163:164]
	v_mul_f64 v[163:164], v[201:202], v[163:164]
	;; [unrolled: 3-line block ×3, first 2 shown]
	v_fma_f64 v[154:155], v[197:198], v[157:158], -v[154:155]
	v_fma_f64 v[156:157], v[199:200], v[157:158], v[159:160]
	ds_read_b128 v[197:200], v183 offset:10816
	v_fma_f64 v[158:159], v[201:202], v[161:162], -v[177:178]
	v_fma_f64 v[160:161], v[203:204], v[161:162], v[163:164]
	ds_read_b128 v[201:204], v183 offset:13520
	;; [unrolled: 3-line block ×3, first 2 shown]
	s_waitcnt vmcnt(3) lgkmcnt(3)
	v_mul_f64 v[166:167], v[211:212], v[171:172]
	v_mul_f64 v[171:172], v[209:210], v[171:172]
	s_waitcnt vmcnt(2) lgkmcnt(2)
	v_mul_f64 v[177:178], v[199:200], v[175:176]
	v_mul_f64 v[175:176], v[197:198], v[175:176]
	;; [unrolled: 3-line block ×4, first 2 shown]
	v_fma_f64 v[166:167], v[209:210], v[169:170], -v[166:167]
	v_fma_f64 v[168:169], v[211:212], v[169:170], v[171:172]
	v_fma_f64 v[170:171], v[197:198], v[173:174], -v[177:178]
	v_fma_f64 v[172:173], v[199:200], v[173:174], v[175:176]
	;; [unrolled: 2-line block ×4, first 2 shown]
	ds_write_b128 v183, v[154:157]
	ds_write_b128 v183, v[158:161] offset:2704
	ds_write_b128 v183, v[162:165] offset:5408
	ds_write_b128 v183, v[166:169] offset:8112
	ds_write_b128 v183, v[170:173] offset:10816
	ds_write_b128 v183, v[174:177] offset:13520
	ds_write_b128 v183, v[189:192] offset:16224
	s_and_saveexec_b64 s[2:3], vcc
	s_cbranch_execz .LBB0_9
; %bb.8:
	s_movk_i32 s0, 0x1000
	v_add_co_u32_e64 v166, s[0:1], s0, v152
	v_addc_co_u32_e64 v167, s[0:1], 0, v153, s[0:1]
	v_add_co_u32_e64 v162, s[0:1], s4, v152
	s_movk_i32 s5, 0x2000
	v_addc_co_u32_e64 v163, s[0:1], 0, v153, s[0:1]
	v_add_co_u32_e64 v174, s[0:1], s5, v152
	global_load_dwordx4 v[154:157], v[152:153], off offset:1456
	global_load_dwordx4 v[158:161], v[166:167], off offset:64
	v_addc_co_u32_e64 v175, s[0:1], 0, v153, s[0:1]
	global_load_dwordx4 v[162:165], v[162:163], off offset:1296
	s_movk_i32 s0, 0x3000
	v_add_co_u32_e64 v152, s[0:1], s0, v152
	global_load_dwordx4 v[166:169], v[166:167], off offset:2768
	s_nop 0
	global_load_dwordx4 v[170:173], v[174:175], off offset:1376
	s_nop 0
	global_load_dwordx4 v[174:177], v[174:175], off offset:4080
	v_addc_co_u32_e64 v153, s[0:1], 0, v153, s[0:1]
	global_load_dwordx4 v[189:192], v[152:153], off offset:2688
	ds_read_b128 v[193:196], v183 offset:1456
	ds_read_b128 v[197:200], v183 offset:4160
	ds_read_b128 v[201:204], v183 offset:6864
	ds_read_b128 v[205:208], v183 offset:9568
	ds_read_b128 v[209:212], v183 offset:17680
	ds_read_b128 v[213:216], v183 offset:12272
	ds_read_b128 v[217:220], v183 offset:14976
	s_waitcnt vmcnt(6) lgkmcnt(6)
	v_mul_f64 v[152:153], v[195:196], v[156:157]
	v_mul_f64 v[156:157], v[193:194], v[156:157]
	s_waitcnt vmcnt(4) lgkmcnt(2)
	v_mul_f64 v[178:179], v[211:212], v[164:165]
	v_mul_f64 v[221:222], v[209:210], v[164:165]
	;; [unrolled: 1-line block ×4, first 2 shown]
	s_waitcnt vmcnt(3)
	v_mul_f64 v[223:224], v[203:204], v[168:169]
	v_mul_f64 v[168:169], v[201:202], v[168:169]
	s_waitcnt vmcnt(2)
	v_mul_f64 v[225:226], v[207:208], v[172:173]
	v_mul_f64 v[172:173], v[205:206], v[172:173]
	s_waitcnt vmcnt(1) lgkmcnt(1)
	v_mul_f64 v[227:228], v[215:216], v[176:177]
	v_mul_f64 v[229:230], v[213:214], v[176:177]
	s_waitcnt vmcnt(0) lgkmcnt(0)
	v_mul_f64 v[231:232], v[219:220], v[191:192]
	v_mul_f64 v[233:234], v[217:218], v[191:192]
	v_fma_f64 v[152:153], v[193:194], v[154:155], -v[152:153]
	v_fma_f64 v[154:155], v[195:196], v[154:155], v[156:157]
	v_fma_f64 v[156:157], v[209:210], v[162:163], -v[178:179]
	v_fma_f64 v[176:177], v[197:198], v[158:159], -v[164:165]
	v_fma_f64 v[178:179], v[199:200], v[158:159], v[160:161]
	v_fma_f64 v[164:165], v[201:202], v[166:167], -v[223:224]
	v_fma_f64 v[166:167], v[203:204], v[166:167], v[168:169]
	;; [unrolled: 2-line block ×5, first 2 shown]
	v_fma_f64 v[158:159], v[211:212], v[162:163], v[221:222]
	ds_write_b128 v183, v[152:155] offset:1456
	ds_write_b128 v183, v[176:179] offset:4160
	;; [unrolled: 1-line block ×7, first 2 shown]
.LBB0_9:
	s_or_b64 exec, exec, s[2:3]
	s_waitcnt lgkmcnt(0)
	s_barrier
	ds_read_b128 v[152:155], v183
	ds_read_b128 v[168:171], v183 offset:2704
	ds_read_b128 v[164:167], v183 offset:5408
	;; [unrolled: 1-line block ×6, first 2 shown]
	s_and_saveexec_b64 s[0:1], vcc
	s_cbranch_execz .LBB0_11
; %bb.10:
	v_lshl_add_u32 v76, v184, 4, v185
	ds_read_b128 v[132:135], v183 offset:1456
	ds_read_b128 v[148:151], v76 offset:4160
	;; [unrolled: 1-line block ×7, first 2 shown]
.LBB0_11:
	s_or_b64 exec, exec, s[0:1]
	s_waitcnt lgkmcnt(0)
	v_add_f64 v[189:190], v[168:169], v[176:177]
	v_add_f64 v[191:192], v[170:171], v[178:179]
	v_add_f64 v[168:169], v[168:169], -v[176:177]
	v_add_f64 v[170:171], v[170:171], -v[178:179]
	v_add_f64 v[176:177], v[164:165], v[172:173]
	v_add_f64 v[178:179], v[166:167], v[174:175]
	v_add_f64 v[164:165], v[164:165], -v[172:173]
	v_add_f64 v[166:167], v[166:167], -v[174:175]
	;; [unrolled: 4-line block ×4, first 2 shown]
	v_add_f64 v[189:190], v[189:190], -v[172:173]
	v_add_f64 v[191:192], v[191:192], -v[174:175]
	;; [unrolled: 1-line block ×4, first 2 shown]
	v_add_f64 v[197:198], v[156:157], v[164:165]
	v_add_f64 v[199:200], v[158:159], v[166:167]
	v_add_f64 v[201:202], v[156:157], -v[164:165]
	v_add_f64 v[203:204], v[158:159], -v[166:167]
	v_add_f64 v[160:161], v[172:173], v[160:161]
	v_add_f64 v[162:163], v[174:175], v[162:163]
	v_add_f64 v[164:165], v[164:165], -v[168:169]
	v_add_f64 v[166:167], v[166:167], -v[170:171]
	s_mov_b32 s2, 0x37e14327
	s_mov_b32 s4, 0x36b3c0b5
	;; [unrolled: 1-line block ×7, first 2 shown]
	v_add_f64 v[156:157], v[168:169], -v[156:157]
	v_add_f64 v[158:159], v[170:171], -v[158:159]
	v_add_f64 v[168:169], v[197:198], v[168:169]
	v_add_f64 v[170:171], v[199:200], v[170:171]
	v_add_f64 v[152:153], v[152:153], v[160:161]
	v_add_f64 v[154:155], v[154:155], v[162:163]
	v_mul_f64 v[172:173], v[189:190], s[2:3]
	v_mul_f64 v[174:175], v[191:192], s[2:3]
	;; [unrolled: 1-line block ×6, first 2 shown]
	s_mov_b32 s1, 0xbfebfeb5
	v_mul_f64 v[201:202], v[164:165], s[0:1]
	v_mul_f64 v[203:204], v[166:167], s[0:1]
	s_mov_b32 s16, 0xaaaaaaaa
	s_mov_b32 s12, 0x5476071b
	;; [unrolled: 1-line block ×8, first 2 shown]
	v_fma_f64 v[160:161], v[160:161], s[16:17], v[152:153]
	v_fma_f64 v[162:163], v[162:163], s[16:17], v[154:155]
	;; [unrolled: 1-line block ×4, first 2 shown]
	v_fma_f64 v[189:190], v[193:194], s[12:13], -v[189:190]
	v_fma_f64 v[191:192], v[195:196], s[12:13], -v[191:192]
	;; [unrolled: 1-line block ×4, first 2 shown]
	v_fma_f64 v[193:194], v[156:157], s[24:25], v[197:198]
	v_fma_f64 v[195:196], v[158:159], s[24:25], v[199:200]
	s_mov_b32 s23, 0x3fd5d0dc
	s_mov_b32 s22, s24
	v_fma_f64 v[156:157], v[156:157], s[22:23], -v[201:202]
	v_fma_f64 v[158:159], v[158:159], s[22:23], -v[203:204]
	;; [unrolled: 1-line block ×4, first 2 shown]
	s_mov_b32 s20, 0x37c3f68c
	s_mov_b32 s21, 0xbfdc38aa
	v_add_f64 v[176:177], v[176:177], v[160:161]
	v_add_f64 v[178:179], v[178:179], v[162:163]
	v_fma_f64 v[195:196], v[170:171], s[20:21], v[195:196]
	v_fma_f64 v[193:194], v[168:169], s[20:21], v[193:194]
	v_add_f64 v[172:173], v[172:173], v[160:161]
	v_add_f64 v[174:175], v[174:175], v[162:163]
	v_fma_f64 v[197:198], v[170:171], s[20:21], v[158:159]
	v_fma_f64 v[199:200], v[168:169], s[20:21], v[156:157]
	;; [unrolled: 4-line block ×3, first 2 shown]
	v_add_f64 v[156:157], v[176:177], v[195:196]
	v_add_f64 v[158:159], v[178:179], -v[193:194]
	v_add_f64 v[160:161], v[172:173], v[197:198]
	v_add_f64 v[162:163], v[174:175], -v[199:200]
	v_add_f64 v[172:173], v[172:173], -v[197:198]
	v_add_f64 v[174:175], v[199:200], v[174:175]
	v_add_f64 v[164:165], v[189:190], -v[170:171]
	v_add_f64 v[166:167], v[201:202], v[191:192]
	v_add_f64 v[168:169], v[189:190], v[170:171]
	v_add_f64 v[170:171], v[191:192], -v[201:202]
	v_add_f64 v[176:177], v[176:177], -v[195:196]
	v_add_f64 v[178:179], v[193:194], v[178:179]
	s_barrier
	ds_write_b128 v187, v[152:155]
	ds_write_b128 v187, v[156:159] offset:16
	ds_write_b128 v187, v[160:163] offset:32
	;; [unrolled: 1-line block ×6, first 2 shown]
	s_and_saveexec_b64 s[26:27], vcc
	s_cbranch_execz .LBB0_13
; %bb.12:
	v_add_f64 v[152:153], v[150:151], v[78:79]
	v_add_f64 v[154:155], v[146:147], v[130:131]
	v_add_f64 v[156:157], v[148:149], -v[76:77]
	v_add_f64 v[158:159], v[140:141], -v[136:137]
	;; [unrolled: 1-line block ×3, first 2 shown]
	v_add_f64 v[162:163], v[138:139], v[142:143]
	v_add_f64 v[148:149], v[148:149], v[76:77]
	;; [unrolled: 1-line block ×5, first 2 shown]
	v_add_f64 v[140:141], v[150:151], -v[78:79]
	v_add_f64 v[138:139], v[142:143], -v[138:139]
	;; [unrolled: 1-line block ×6, first 2 shown]
	v_add_f64 v[146:147], v[158:159], v[160:161]
	v_add_f64 v[76:77], v[162:163], v[76:77]
	v_add_f64 v[158:159], v[128:129], v[148:149]
	v_add_f64 v[160:161], v[160:161], -v[156:157]
	v_add_f64 v[150:151], v[162:163], -v[154:155]
	v_mul_f64 v[166:167], v[78:79], s[14:15]
	v_mul_f64 v[144:145], v[144:145], s[2:3]
	v_add_f64 v[162:163], v[148:149], -v[136:137]
	v_add_f64 v[164:165], v[136:137], -v[128:129]
	v_add_f64 v[78:79], v[134:135], v[76:77]
	v_add_f64 v[168:169], v[138:139], -v[130:131]
	v_add_f64 v[136:137], v[136:137], v[158:159]
	;; [unrolled: 2-line block ×3, first 2 shown]
	v_add_f64 v[152:153], v[154:155], -v[152:153]
	v_add_f64 v[154:155], v[130:131], -v[140:141]
	v_mul_f64 v[130:131], v[160:161], s[0:1]
	v_add_f64 v[146:147], v[146:147], v[156:157]
	v_fma_f64 v[156:157], v[142:143], s[24:25], v[166:167]
	v_fma_f64 v[158:159], v[150:151], s[4:5], v[144:145]
	;; [unrolled: 1-line block ×3, first 2 shown]
	v_mul_f64 v[162:163], v[162:163], s[2:3]
	v_add_f64 v[76:77], v[132:133], v[136:137]
	v_mul_f64 v[168:169], v[168:169], s[14:15]
	v_mul_f64 v[150:151], v[150:151], s[4:5]
	v_fma_f64 v[142:143], v[142:143], s[22:23], -v[130:131]
	v_add_f64 v[128:129], v[128:129], -v[148:149]
	v_mul_f64 v[148:149], v[154:155], s[0:1]
	v_fma_f64 v[132:133], v[146:147], s[20:21], v[156:157]
	v_add_f64 v[156:157], v[158:159], v[170:171]
	v_mul_f64 v[158:159], v[164:165], s[4:5]
	v_fma_f64 v[164:165], v[164:165], s[4:5], v[162:163]
	v_fma_f64 v[136:137], v[136:137], s[16:17], v[76:77]
	;; [unrolled: 1-line block ×3, first 2 shown]
	v_add_f64 v[138:139], v[138:139], v[140:141]
	v_fma_f64 v[144:145], v[152:153], s[18:19], -v[144:145]
	v_fma_f64 v[140:141], v[152:153], s[12:13], -v[150:151]
	;; [unrolled: 1-line block ×3, first 2 shown]
	v_fma_f64 v[152:153], v[146:147], s[20:21], v[142:143]
	v_fma_f64 v[142:143], v[128:129], s[18:19], -v[162:163]
	v_fma_f64 v[134:135], v[134:135], s[22:23], -v[148:149]
	;; [unrolled: 1-line block ×4, first 2 shown]
	v_add_f64 v[154:155], v[164:165], v[136:137]
	v_fma_f64 v[158:159], v[138:139], s[20:21], v[172:173]
	v_add_f64 v[144:145], v[144:145], v[170:171]
	v_add_f64 v[140:141], v[140:141], v[170:171]
	v_fma_f64 v[146:147], v[146:147], s[20:21], v[150:151]
	v_add_f64 v[160:161], v[142:143], v[136:137]
	v_fma_f64 v[162:163], v[138:139], s[20:21], v[134:135]
	;; [unrolled: 2-line block ×3, first 2 shown]
	v_add_f64 v[150:151], v[156:157], -v[132:133]
	v_add_f64 v[148:149], v[154:155], v[158:159]
	v_add_f64 v[134:135], v[152:153], v[144:145]
	v_add_f64 v[138:139], v[140:141], -v[146:147]
	v_add_f64 v[142:143], v[146:147], v[140:141]
	v_add_f64 v[146:147], v[144:145], -v[152:153]
	;; [unrolled: 2-line block ×3, first 2 shown]
	v_add_f64 v[136:137], v[128:129], v[136:137]
	v_add_f64 v[130:131], v[132:133], v[156:157]
	v_add_f64 v[132:133], v[160:161], -v[162:163]
	v_add_f64 v[128:129], v[154:155], -v[158:159]
	v_lshl_add_u32 v152, v186, 4, v185
	ds_write_b128 v152, v[76:79]
	ds_write_b128 v152, v[148:151] offset:16
	ds_write_b128 v152, v[144:147] offset:32
	ds_write_b128 v152, v[140:143] offset:48
	ds_write_b128 v152, v[136:139] offset:64
	ds_write_b128 v152, v[132:135] offset:80
	ds_write_b128 v152, v[128:131] offset:96
.LBB0_13:
	s_or_b64 exec, exec, s[26:27]
	s_waitcnt lgkmcnt(0)
	s_barrier
	ds_read_b128 v[76:79], v183 offset:1456
	ds_read_b128 v[128:131], v183 offset:2912
	ds_read_b128 v[132:135], v183
	ds_read_b128 v[136:139], v183 offset:4368
	s_mov_b32 s4, 0x4267c47c
	s_mov_b32 s0, 0xe00740e9
	s_waitcnt lgkmcnt(2)
	v_mul_f64 v[142:143], v[70:71], v[130:131]
	v_mul_f64 v[140:141], v[74:75], v[78:79]
	;; [unrolled: 1-line block ×4, first 2 shown]
	s_waitcnt lgkmcnt(0)
	v_mul_f64 v[146:147], v[42:43], v[138:139]
	v_mul_f64 v[42:43], v[42:43], v[136:137]
	s_mov_b32 s5, 0xbfddbe06
	s_mov_b32 s1, 0x3fec55a7
	v_fma_f64 v[154:155], v[68:69], v[128:129], v[142:143]
	v_fma_f64 v[152:153], v[72:73], v[76:77], v[140:141]
	v_fma_f64 v[78:79], v[72:73], v[78:79], -v[74:75]
	v_fma_f64 v[156:157], v[68:69], v[130:131], -v[144:145]
	ds_read_b128 v[70:73], v183 offset:5824
	ds_read_b128 v[74:77], v183 offset:7280
	v_fma_f64 v[158:159], v[40:41], v[136:137], v[146:147]
	v_fma_f64 v[160:161], v[40:41], v[138:139], -v[42:43]
	ds_read_b128 v[128:131], v183 offset:8736
	ds_read_b128 v[140:143], v183 offset:10192
	s_waitcnt lgkmcnt(3)
	v_mul_f64 v[148:149], v[34:35], v[72:73]
	v_add_f64 v[68:69], v[132:133], v[152:153]
	v_add_f64 v[144:145], v[134:135], v[78:79]
	v_mul_f64 v[34:35], v[34:35], v[70:71]
	s_waitcnt lgkmcnt(2)
	v_mul_f64 v[162:163], v[66:67], v[76:77]
	v_mul_f64 v[164:165], v[66:67], v[74:75]
	s_waitcnt lgkmcnt(1)
	v_mul_f64 v[170:171], v[46:47], v[130:131]
	v_mul_f64 v[46:47], v[46:47], v[128:129]
	v_fma_f64 v[166:167], v[32:33], v[70:71], v[148:149]
	v_add_f64 v[40:41], v[68:69], v[154:155]
	v_add_f64 v[42:43], v[144:145], v[156:157]
	v_fma_f64 v[168:169], v[32:33], v[72:73], -v[34:35]
	ds_read_b128 v[136:139], v183 offset:11648
	ds_read_b128 v[144:147], v183 offset:13104
	;; [unrolled: 1-line block ×5, first 2 shown]
	s_mov_b32 s16, 0x42a4c3d2
	s_mov_b32 s18, 0x1ea71119
	;; [unrolled: 1-line block ×3, first 2 shown]
	v_add_f64 v[32:33], v[40:41], v[158:159]
	v_add_f64 v[34:35], v[42:43], v[160:161]
	v_fma_f64 v[40:41], v[64:65], v[74:75], v[162:163]
	v_fma_f64 v[42:43], v[64:65], v[76:77], -v[164:165]
	s_waitcnt lgkmcnt(5)
	v_mul_f64 v[76:77], v[38:39], v[142:143]
	v_mul_f64 v[162:163], v[38:39], v[140:141]
	s_mov_b32 s12, 0xebaa3ed8
	s_mov_b32 s22, 0x2ef20147
	v_add_f64 v[64:65], v[32:33], v[166:167]
	v_add_f64 v[74:75], v[34:35], v[168:169]
	v_fma_f64 v[32:33], v[44:45], v[128:129], v[170:171]
	v_fma_f64 v[34:35], v[44:45], v[130:131], -v[46:47]
	v_fma_f64 v[38:39], v[36:37], v[140:141], v[76:77]
	v_fma_f64 v[36:37], v[36:37], v[142:143], -v[162:163]
	s_waitcnt lgkmcnt(3)
	v_mul_f64 v[128:129], v[62:63], v[146:147]
	s_waitcnt lgkmcnt(0)
	v_mul_f64 v[130:131], v[58:59], v[148:149]
	v_add_f64 v[44:45], v[64:65], v[40:41]
	v_add_f64 v[46:47], v[74:75], v[42:43]
	v_mul_f64 v[64:65], v[30:31], v[138:139]
	v_mul_f64 v[30:31], v[30:31], v[136:137]
	;; [unrolled: 1-line block ×6, first 2 shown]
	v_add_f64 v[74:75], v[44:45], v[32:33]
	v_add_f64 v[76:77], v[46:47], v[34:35]
	v_fma_f64 v[44:45], v[28:29], v[136:137], v[64:65]
	v_fma_f64 v[46:47], v[28:29], v[138:139], -v[30:31]
	v_fma_f64 v[64:65], v[56:57], v[150:151], -v[130:131]
	v_fma_f64 v[66:67], v[52:53], v[66:67], v[140:141]
	v_fma_f64 v[56:57], v[56:57], v[148:149], v[58:59]
	v_fma_f64 v[52:53], v[52:53], v[68:69], -v[54:55]
	v_add_f64 v[28:29], v[74:75], v[38:39]
	v_add_f64 v[30:31], v[76:77], v[36:37]
	v_fma_f64 v[76:77], v[60:61], v[144:145], v[128:129]
	v_mul_f64 v[74:75], v[50:51], v[72:73]
	v_fma_f64 v[60:61], v[60:61], v[146:147], -v[62:63]
	v_add_f64 v[58:59], v[78:79], -v[64:65]
	v_add_f64 v[62:63], v[78:79], v[64:65]
	v_mul_f64 v[50:51], v[50:51], v[70:71]
	v_add_f64 v[28:29], v[28:29], v[44:45]
	v_add_f64 v[30:31], v[30:31], v[46:47]
	;; [unrolled: 1-line block ×3, first 2 shown]
	v_add_f64 v[68:69], v[152:153], -v[56:57]
	v_fma_f64 v[70:71], v[48:49], v[70:71], v[74:75]
	v_mul_f64 v[78:79], v[58:59], s[4:5]
	v_mul_f64 v[128:129], v[62:63], s[0:1]
	v_fma_f64 v[48:49], v[48:49], v[72:73], -v[50:51]
	v_add_f64 v[28:29], v[28:29], v[76:77]
	v_add_f64 v[30:31], v[30:31], v[60:61]
	s_mov_b32 s26, 0xb2365da1
	s_mov_b32 s30, 0x24c2f84
	;; [unrolled: 1-line block ×3, first 2 shown]
	v_fma_f64 v[50:51], v[54:55], s[0:1], v[78:79]
	v_fma_f64 v[74:75], v[54:55], s[0:1], -v[78:79]
	v_fma_f64 v[78:79], v[68:69], s[4:5], v[128:129]
	v_add_f64 v[28:29], v[28:29], v[66:67]
	v_add_f64 v[30:31], v[30:31], v[52:53]
	s_mov_b32 s38, 0x4bc48dbf
	s_mov_b32 s40, 0x93053d00
	;; [unrolled: 1-line block ×6, first 2 shown]
	v_add_f64 v[28:29], v[28:29], v[70:71]
	s_mov_b32 s3, 0xbfefc445
	s_mov_b32 s13, 0x3fbedb7d
	;; [unrolled: 1-line block ×8, first 2 shown]
	v_fma_f64 v[72:73], v[68:69], s[24:25], v[128:129]
	v_add_f64 v[30:31], v[30:31], v[48:49]
	v_mul_f64 v[128:129], v[58:59], s[16:17]
	v_add_f64 v[28:29], v[28:29], v[56:57]
	v_add_f64 v[56:57], v[134:135], v[78:79]
	v_mul_f64 v[78:79], v[62:63], s[18:19]
	v_mul_f64 v[130:131], v[58:59], s[2:3]
	;; [unrolled: 1-line block ×8, first 2 shown]
	v_add_f64 v[172:173], v[156:157], v[48:49]
	v_add_f64 v[48:49], v[156:157], -v[48:49]
	v_mul_f64 v[62:63], v[62:63], s[40:41]
	s_mov_b32 s21, 0x3fea55e2
	s_mov_b32 s20, s16
	;; [unrolled: 1-line block ×10, first 2 shown]
	v_add_f64 v[30:31], v[30:31], v[64:65]
	v_fma_f64 v[64:65], v[54:55], s[18:19], v[128:129]
	v_fma_f64 v[138:139], v[68:69], s[20:21], v[78:79]
	v_fma_f64 v[128:129], v[54:55], s[18:19], -v[128:129]
	v_fma_f64 v[78:79], v[68:69], s[16:17], v[78:79]
	v_fma_f64 v[140:141], v[54:55], s[12:13], v[130:131]
	v_fma_f64 v[142:143], v[68:69], s[14:15], v[136:137]
	v_fma_f64 v[130:131], v[54:55], s[12:13], -v[130:131]
	v_fma_f64 v[136:137], v[68:69], s[2:3], v[136:137]
	;; [unrolled: 4-line block ×4, first 2 shown]
	v_fma_f64 v[156:157], v[54:55], s[40:41], v[58:59]
	v_add_f64 v[174:175], v[154:155], v[70:71]
	v_add_f64 v[70:71], v[154:155], -v[70:71]
	v_mul_f64 v[154:155], v[48:49], s[16:17]
	v_fma_f64 v[178:179], v[68:69], s[42:43], v[62:63]
	v_fma_f64 v[54:55], v[54:55], s[40:41], -v[58:59]
	v_fma_f64 v[58:59], v[68:69], s[38:39], v[62:63]
	v_add_f64 v[50:51], v[132:133], v[50:51]
	v_add_f64 v[72:73], v[134:135], v[72:73]
	;; [unrolled: 1-line block ×9, first 2 shown]
	v_mul_f64 v[176:177], v[172:173], s[18:19]
	v_add_f64 v[62:63], v[132:133], v[150:151]
	v_add_f64 v[68:69], v[134:135], v[152:153]
	v_fma_f64 v[150:151], v[174:175], s[18:19], v[154:155]
	v_add_f64 v[178:179], v[134:135], v[178:179]
	v_add_f64 v[58:59], v[134:135], v[58:59]
	v_mul_f64 v[134:135], v[172:173], s[26:27]
	v_add_f64 v[74:75], v[132:133], v[74:75]
	v_add_f64 v[64:65], v[132:133], v[64:65]
	;; [unrolled: 1-line block ×8, first 2 shown]
	v_fma_f64 v[152:153], v[70:71], s[20:21], v[176:177]
	v_add_f64 v[156:157], v[132:133], v[156:157]
	v_add_f64 v[54:55], v[132:133], v[54:55]
	v_mul_f64 v[132:133], v[48:49], s[22:23]
	v_add_f64 v[50:51], v[150:151], v[50:51]
	v_fma_f64 v[150:151], v[174:175], s[18:19], -v[154:155]
	v_mul_f64 v[154:155], v[48:49], s[38:39]
	v_fma_f64 v[189:190], v[70:71], s[28:29], v[134:135]
	v_fma_f64 v[134:135], v[70:71], s[22:23], v[134:135]
	v_add_f64 v[72:73], v[152:153], v[72:73]
	v_fma_f64 v[152:153], v[70:71], s[16:17], v[176:177]
	v_mul_f64 v[176:177], v[172:173], s[40:41]
	v_fma_f64 v[185:186], v[174:175], s[26:27], v[132:133]
	v_fma_f64 v[132:133], v[174:175], s[26:27], -v[132:133]
	v_add_f64 v[74:75], v[150:151], v[74:75]
	v_fma_f64 v[150:151], v[174:175], s[40:41], v[154:155]
	v_add_f64 v[78:79], v[134:135], v[78:79]
	v_mul_f64 v[134:135], v[172:173], s[34:35]
	v_add_f64 v[56:57], v[152:153], v[56:57]
	v_fma_f64 v[152:153], v[70:71], s[42:43], v[176:177]
	v_add_f64 v[138:139], v[189:190], v[138:139]
	v_add_f64 v[128:129], v[132:133], v[128:129]
	v_mul_f64 v[132:133], v[48:49], s[36:37]
	v_add_f64 v[140:141], v[150:151], v[140:141]
	v_mul_f64 v[150:151], v[48:49], s[14:15]
	v_fma_f64 v[154:155], v[174:175], s[40:41], -v[154:155]
	v_fma_f64 v[189:190], v[70:71], s[30:31], v[134:135]
	v_add_f64 v[64:65], v[185:186], v[64:65]
	v_add_f64 v[142:143], v[152:153], v[142:143]
	v_mul_f64 v[152:153], v[172:173], s[12:13]
	v_fma_f64 v[185:186], v[174:175], s[34:35], v[132:133]
	v_fma_f64 v[132:133], v[174:175], s[34:35], -v[132:133]
	v_fma_f64 v[191:192], v[174:175], s[12:13], v[150:151]
	v_add_f64 v[130:131], v[154:155], v[130:131]
	v_add_f64 v[154:155], v[189:190], v[162:163]
	v_add_f64 v[162:163], v[160:161], -v[52:53]
	v_fma_f64 v[176:177], v[70:71], s[38:39], v[176:177]
	v_fma_f64 v[134:135], v[70:71], s[36:37], v[134:135]
	;; [unrolled: 1-line block ×3, first 2 shown]
	v_add_f64 v[132:133], v[132:133], v[144:145]
	v_add_f64 v[144:145], v[191:192], v[164:165]
	v_add_f64 v[52:53], v[160:161], v[52:53]
	v_mul_f64 v[48:49], v[48:49], s[24:25]
	v_mul_f64 v[160:161], v[172:173], s[0:1]
	v_fma_f64 v[150:151], v[174:175], s[12:13], -v[150:151]
	v_add_f64 v[164:165], v[158:159], v[66:67]
	v_add_f64 v[66:67], v[158:159], -v[66:67]
	v_mul_f64 v[158:159], v[162:163], s[2:3]
	v_add_f64 v[136:137], v[176:177], v[136:137]
	v_add_f64 v[134:135], v[134:135], v[148:149]
	;; [unrolled: 1-line block ×3, first 2 shown]
	v_fma_f64 v[152:153], v[70:71], s[14:15], v[152:153]
	v_mul_f64 v[170:171], v[52:53], s[12:13]
	v_fma_f64 v[172:173], v[174:175], s[0:1], v[48:49]
	v_fma_f64 v[176:177], v[70:71], s[4:5], v[160:161]
	v_fma_f64 v[48:49], v[174:175], s[0:1], -v[48:49]
	v_fma_f64 v[70:71], v[70:71], s[24:25], v[160:161]
	v_add_f64 v[62:63], v[150:151], v[62:63]
	v_fma_f64 v[150:151], v[164:165], s[12:13], v[158:159]
	v_add_f64 v[68:69], v[152:153], v[68:69]
	;; [unrolled: 2-line block ×3, first 2 shown]
	v_add_f64 v[160:161], v[176:177], v[178:179]
	v_add_f64 v[48:49], v[48:49], v[54:55]
	;; [unrolled: 1-line block ×3, first 2 shown]
	v_mul_f64 v[70:71], v[52:53], s[40:41]
	v_add_f64 v[50:51], v[150:151], v[50:51]
	v_fma_f64 v[150:151], v[164:165], s[12:13], -v[158:159]
	v_mul_f64 v[158:159], v[162:163], s[28:29]
	v_mul_f64 v[58:59], v[162:163], s[38:39]
	v_add_f64 v[72:73], v[152:153], v[72:73]
	v_fma_f64 v[152:153], v[66:67], s[2:3], v[170:171]
	v_mul_f64 v[170:171], v[52:53], s[26:27]
	v_fma_f64 v[174:175], v[66:67], s[42:43], v[70:71]
	v_fma_f64 v[70:71], v[66:67], s[38:39], v[70:71]
	v_add_f64 v[74:75], v[150:151], v[74:75]
	v_fma_f64 v[150:151], v[164:165], s[26:27], v[158:159]
	v_fma_f64 v[172:173], v[164:165], s[40:41], v[58:59]
	v_fma_f64 v[58:59], v[164:165], s[40:41], -v[58:59]
	v_add_f64 v[56:57], v[152:153], v[56:57]
	v_fma_f64 v[152:153], v[66:67], s[22:23], v[170:171]
	v_add_f64 v[138:139], v[174:175], v[138:139]
	v_add_f64 v[70:71], v[70:71], v[78:79]
	v_mul_f64 v[78:79], v[162:163], s[24:25]
	v_add_f64 v[140:141], v[150:151], v[140:141]
	v_mul_f64 v[150:151], v[162:163], s[16:17]
	v_add_f64 v[64:65], v[172:173], v[64:65]
	v_add_f64 v[58:59], v[58:59], v[128:129]
	v_mul_f64 v[128:129], v[52:53], s[0:1]
	v_add_f64 v[142:143], v[152:153], v[142:143]
	v_mul_f64 v[152:153], v[52:53], s[18:19]
	v_fma_f64 v[172:173], v[164:165], s[0:1], v[78:79]
	v_fma_f64 v[78:79], v[164:165], s[0:1], -v[78:79]
	v_fma_f64 v[176:177], v[164:165], s[18:19], v[150:151]
	v_fma_f64 v[158:159], v[164:165], s[26:27], -v[158:159]
	v_fma_f64 v[170:171], v[66:67], s[28:29], v[170:171]
	v_fma_f64 v[174:175], v[66:67], s[4:5], v[128:129]
	;; [unrolled: 1-line block ×4, first 2 shown]
	v_mul_f64 v[52:53], v[52:53], s[34:35]
	v_add_f64 v[78:79], v[78:79], v[132:133]
	v_add_f64 v[132:133], v[176:177], v[144:145]
	v_add_f64 v[144:145], v[168:169], -v[60:61]
	v_add_f64 v[60:61], v[168:169], v[60:61]
	v_add_f64 v[130:131], v[158:159], v[130:131]
	;; [unrolled: 1-line block ×4, first 2 shown]
	v_mul_f64 v[148:149], v[162:163], s[30:31]
	v_fma_f64 v[150:151], v[164:165], s[18:19], -v[150:151]
	v_fma_f64 v[152:153], v[66:67], s[16:17], v[152:153]
	v_add_f64 v[158:159], v[166:167], v[76:77]
	v_add_f64 v[76:77], v[166:167], -v[76:77]
	v_mul_f64 v[162:163], v[144:145], s[22:23]
	v_mul_f64 v[166:167], v[60:61], s[26:27]
	v_add_f64 v[136:137], v[170:171], v[136:137]
	v_fma_f64 v[168:169], v[164:165], s[34:35], v[148:149]
	v_fma_f64 v[170:171], v[66:67], s[36:37], v[52:53]
	v_fma_f64 v[148:149], v[164:165], s[34:35], -v[148:149]
	v_fma_f64 v[52:53], v[66:67], s[30:31], v[52:53]
	v_add_f64 v[62:63], v[150:151], v[62:63]
	v_add_f64 v[66:67], v[152:153], v[68:69]
	v_fma_f64 v[68:69], v[158:159], s[26:27], v[162:163]
	v_fma_f64 v[150:151], v[76:77], s[28:29], v[166:167]
	v_add_f64 v[152:153], v[168:169], v[156:157]
	v_add_f64 v[156:157], v[170:171], v[160:161]
	;; [unrolled: 1-line block ×4, first 2 shown]
	v_mul_f64 v[54:55], v[144:145], s[36:37]
	v_mul_f64 v[148:149], v[60:61], s[34:35]
	v_add_f64 v[50:51], v[68:69], v[50:51]
	v_add_f64 v[68:69], v[150:151], v[72:73]
	v_fma_f64 v[72:73], v[158:159], s[26:27], -v[162:163]
	v_fma_f64 v[150:151], v[76:77], s[22:23], v[166:167]
	v_mul_f64 v[160:161], v[144:145], s[24:25]
	v_mul_f64 v[162:163], v[60:61], s[0:1]
	v_fma_f64 v[164:165], v[158:159], s[34:35], v[54:55]
	v_fma_f64 v[166:167], v[76:77], s[30:31], v[148:149]
	v_fma_f64 v[54:55], v[158:159], s[34:35], -v[54:55]
	v_fma_f64 v[148:149], v[76:77], s[36:37], v[148:149]
	v_add_f64 v[72:73], v[72:73], v[74:75]
	v_add_f64 v[56:57], v[150:151], v[56:57]
	v_fma_f64 v[74:75], v[158:159], s[0:1], v[160:161]
	v_fma_f64 v[150:151], v[76:77], s[4:5], v[162:163]
	v_add_f64 v[64:65], v[164:165], v[64:65]
	v_add_f64 v[138:139], v[166:167], v[138:139]
	;; [unrolled: 1-line block ×4, first 2 shown]
	v_mul_f64 v[70:71], v[144:145], s[2:3]
	v_mul_f64 v[148:149], v[60:61], s[12:13]
	v_add_f64 v[74:75], v[74:75], v[140:141]
	v_add_f64 v[140:141], v[150:151], v[142:143]
	v_fma_f64 v[142:143], v[158:159], s[0:1], -v[160:161]
	v_mul_f64 v[160:161], v[144:145], s[42:43]
	v_fma_f64 v[150:151], v[76:77], s[24:25], v[162:163]
	v_mul_f64 v[162:163], v[60:61], s[40:41]
	v_fma_f64 v[164:165], v[158:159], s[12:13], v[70:71]
	v_fma_f64 v[166:167], v[76:77], s[14:15], v[148:149]
	v_fma_f64 v[70:71], v[158:159], s[12:13], -v[70:71]
	v_fma_f64 v[148:149], v[76:77], s[2:3], v[148:149]
	v_add_f64 v[130:131], v[142:143], v[130:131]
	v_fma_f64 v[142:143], v[158:159], s[40:41], v[160:161]
	v_add_f64 v[136:137], v[150:151], v[136:137]
	v_fma_f64 v[150:151], v[76:77], s[38:39], v[162:163]
	v_mul_f64 v[60:61], v[60:61], s[18:19]
	v_add_f64 v[146:147], v[185:186], v[146:147]
	v_add_f64 v[70:71], v[70:71], v[78:79]
	;; [unrolled: 1-line block ×3, first 2 shown]
	v_mul_f64 v[128:129], v[144:145], s[20:21]
	v_add_f64 v[132:133], v[142:143], v[132:133]
	v_add_f64 v[142:143], v[42:43], -v[46:47]
	v_add_f64 v[42:43], v[42:43], v[46:47]
	v_add_f64 v[134:135], v[150:151], v[134:135]
	v_fma_f64 v[46:47], v[158:159], s[40:41], -v[160:161]
	v_fma_f64 v[144:145], v[76:77], s[42:43], v[162:163]
	v_fma_f64 v[150:151], v[76:77], s[16:17], v[60:61]
	;; [unrolled: 1-line block ×3, first 2 shown]
	v_add_f64 v[160:161], v[40:41], v[44:45]
	v_add_f64 v[40:41], v[40:41], -v[44:45]
	v_mul_f64 v[44:45], v[142:143], s[30:31]
	v_mul_f64 v[162:163], v[42:43], s[34:35]
	v_fma_f64 v[60:61], v[76:77], s[20:21], v[60:61]
	v_fma_f64 v[128:129], v[158:159], s[18:19], -v[128:129]
	v_add_f64 v[46:47], v[46:47], v[62:63]
	v_add_f64 v[62:63], v[144:145], v[66:67]
	;; [unrolled: 1-line block ×4, first 2 shown]
	v_fma_f64 v[144:145], v[160:161], s[34:35], v[44:45]
	v_fma_f64 v[148:149], v[40:41], s[36:37], v[162:163]
	v_add_f64 v[52:53], v[60:61], v[52:53]
	v_mul_f64 v[60:61], v[142:143], s[14:15]
	v_add_f64 v[48:49], v[128:129], v[48:49]
	v_mul_f64 v[128:129], v[42:43], s[12:13]
	v_fma_f64 v[44:45], v[160:161], s[34:35], -v[44:45]
	v_fma_f64 v[150:151], v[40:41], s[30:31], v[162:163]
	v_add_f64 v[50:51], v[144:145], v[50:51]
	v_add_f64 v[68:69], v[148:149], v[68:69]
	v_mul_f64 v[144:145], v[142:143], s[16:17]
	v_mul_f64 v[148:149], v[42:43], s[18:19]
	v_fma_f64 v[152:153], v[160:161], s[12:13], v[60:61]
	v_add_f64 v[146:147], v[172:173], v[146:147]
	v_fma_f64 v[156:157], v[40:41], s[2:3], v[128:129]
	v_add_f64 v[44:45], v[44:45], v[72:73]
	v_add_f64 v[56:57], v[150:151], v[56:57]
	v_fma_f64 v[60:61], v[160:161], s[12:13], -v[60:61]
	v_fma_f64 v[72:73], v[40:41], s[14:15], v[128:129]
	v_fma_f64 v[128:129], v[160:161], s[18:19], v[144:145]
	;; [unrolled: 1-line block ×3, first 2 shown]
	v_add_f64 v[64:65], v[152:153], v[64:65]
	v_mul_f64 v[152:153], v[142:143], s[42:43]
	v_add_f64 v[154:155], v[174:175], v[154:155]
	v_add_f64 v[146:147], v[164:165], v[146:147]
	;; [unrolled: 1-line block ×3, first 2 shown]
	v_mul_f64 v[156:157], v[42:43], s[40:41]
	v_add_f64 v[54:55], v[60:61], v[54:55]
	v_add_f64 v[58:59], v[72:73], v[58:59]
	;; [unrolled: 1-line block ×4, first 2 shown]
	v_fma_f64 v[74:75], v[160:161], s[18:19], -v[144:145]
	v_fma_f64 v[128:129], v[40:41], s[16:17], v[148:149]
	v_fma_f64 v[140:141], v[160:161], s[40:41], v[152:153]
	v_mul_f64 v[148:149], v[142:143], s[24:25]
	v_add_f64 v[154:155], v[166:167], v[154:155]
	v_fma_f64 v[144:145], v[40:41], s[38:39], v[156:157]
	v_mul_f64 v[150:151], v[42:43], s[0:1]
	v_fma_f64 v[152:153], v[160:161], s[40:41], -v[152:153]
	v_add_f64 v[74:75], v[74:75], v[130:131]
	v_add_f64 v[128:129], v[128:129], v[136:137]
	;; [unrolled: 1-line block ×3, first 2 shown]
	v_fma_f64 v[140:141], v[160:161], s[0:1], v[148:149]
	v_mul_f64 v[142:143], v[142:143], s[22:23]
	v_add_f64 v[136:137], v[144:145], v[154:155]
	v_fma_f64 v[144:145], v[40:41], s[4:5], v[150:151]
	v_add_f64 v[70:71], v[152:153], v[70:71]
	v_fma_f64 v[146:147], v[160:161], s[0:1], -v[148:149]
	v_fma_f64 v[148:149], v[40:41], s[24:25], v[150:151]
	v_mul_f64 v[42:43], v[42:43], s[26:27]
	v_add_f64 v[132:133], v[140:141], v[132:133]
	v_add_f64 v[140:141], v[34:35], -v[36:37]
	v_add_f64 v[150:151], v[32:33], v[38:39]
	v_add_f64 v[134:135], v[144:145], v[134:135]
	;; [unrolled: 1-line block ×3, first 2 shown]
	v_fma_f64 v[34:35], v[160:161], s[26:27], v[142:143]
	v_add_f64 v[152:153], v[32:33], -v[38:39]
	v_fma_f64 v[156:157], v[40:41], s[42:43], v[156:157]
	v_add_f64 v[146:147], v[146:147], v[46:47]
	v_mul_f64 v[32:33], v[140:141], s[38:39]
	v_add_f64 v[148:149], v[148:149], v[62:63]
	v_fma_f64 v[36:37], v[40:41], s[28:29], v[42:43]
	v_mul_f64 v[38:39], v[144:145], s[40:41]
	v_fma_f64 v[46:47], v[160:161], s[26:27], -v[142:143]
	v_fma_f64 v[40:41], v[40:41], s[22:23], v[42:43]
	v_add_f64 v[142:143], v[34:35], v[66:67]
	v_mul_f64 v[62:63], v[140:141], s[24:25]
	v_mul_f64 v[66:67], v[144:145], s[0:1]
	v_fma_f64 v[34:35], v[150:151], s[40:41], v[32:33]
	v_add_f64 v[78:79], v[156:157], v[78:79]
	v_add_f64 v[76:77], v[36:37], v[76:77]
	v_fma_f64 v[36:37], v[152:153], s[42:43], v[38:39]
	v_add_f64 v[154:155], v[46:47], v[48:49]
	v_add_f64 v[156:157], v[40:41], v[52:53]
	v_fma_f64 v[40:41], v[150:151], s[40:41], -v[32:33]
	v_fma_f64 v[38:39], v[152:153], s[38:39], v[38:39]
	v_fma_f64 v[42:43], v[150:151], s[0:1], v[62:63]
	;; [unrolled: 1-line block ×3, first 2 shown]
	v_add_f64 v[32:33], v[34:35], v[50:51]
	v_mul_f64 v[48:49], v[140:141], s[30:31]
	v_mul_f64 v[50:51], v[144:145], s[34:35]
	v_add_f64 v[34:35], v[36:37], v[68:69]
	v_add_f64 v[36:37], v[40:41], v[44:45]
	;; [unrolled: 1-line block ×5, first 2 shown]
	v_fma_f64 v[44:45], v[150:151], s[0:1], -v[62:63]
	v_fma_f64 v[46:47], v[152:153], s[24:25], v[66:67]
	v_fma_f64 v[52:53], v[150:151], s[34:35], v[48:49]
	;; [unrolled: 1-line block ×3, first 2 shown]
	v_mul_f64 v[62:63], v[140:141], s[20:21]
	v_mul_f64 v[64:65], v[144:145], s[18:19]
	v_fma_f64 v[66:67], v[150:151], s[34:35], -v[48:49]
	v_fma_f64 v[68:69], v[152:153], s[30:31], v[50:51]
	v_add_f64 v[44:45], v[44:45], v[54:55]
	v_add_f64 v[46:47], v[46:47], v[58:59]
	;; [unrolled: 1-line block ×4, first 2 shown]
	v_fma_f64 v[56:57], v[150:151], s[18:19], v[62:63]
	v_fma_f64 v[58:59], v[152:153], s[16:17], v[64:65]
	v_add_f64 v[52:53], v[66:67], v[74:75]
	v_fma_f64 v[60:61], v[150:151], s[18:19], -v[62:63]
	v_fma_f64 v[62:63], v[152:153], s[20:21], v[64:65]
	v_mul_f64 v[64:65], v[140:141], s[22:23]
	v_mul_f64 v[66:67], v[144:145], s[26:27]
	v_add_f64 v[54:55], v[68:69], v[128:129]
	v_mul_f64 v[68:69], v[140:141], s[14:15]
	v_mul_f64 v[72:73], v[144:145], s[12:13]
	v_add_f64 v[56:57], v[56:57], v[130:131]
	v_add_f64 v[60:61], v[60:61], v[70:71]
	;; [unrolled: 1-line block ×3, first 2 shown]
	v_fma_f64 v[70:71], v[150:151], s[26:27], v[64:65]
	v_fma_f64 v[74:75], v[152:153], s[28:29], v[66:67]
	v_add_f64 v[62:63], v[62:63], v[78:79]
	v_fma_f64 v[130:131], v[150:151], s[12:13], v[68:69]
	v_fma_f64 v[136:137], v[152:153], s[2:3], v[72:73]
	v_fma_f64 v[78:79], v[150:151], s[26:27], -v[64:65]
	v_fma_f64 v[138:139], v[150:151], s[12:13], -v[68:69]
	v_fma_f64 v[140:141], v[152:153], s[14:15], v[72:73]
	v_fma_f64 v[128:129], v[152:153], s[22:23], v[66:67]
	v_add_f64 v[64:65], v[70:71], v[132:133]
	v_add_f64 v[66:67], v[74:75], v[134:135]
	v_add_f64 v[72:73], v[130:131], v[142:143]
	v_add_f64 v[74:75], v[136:137], v[76:77]
	v_add_f64 v[68:69], v[78:79], v[146:147]
	v_add_f64 v[76:77], v[138:139], v[154:155]
	v_add_f64 v[78:79], v[140:141], v[156:157]
	v_add_f64 v[70:71], v[128:129], v[148:149]
	s_barrier
	ds_write_b128 v188, v[28:31]
	ds_write_b128 v188, v[32:35] offset:112
	ds_write_b128 v188, v[40:43] offset:224
	ds_write_b128 v188, v[48:51] offset:336
	ds_write_b128 v188, v[56:59] offset:448
	ds_write_b128 v188, v[64:67] offset:560
	ds_write_b128 v188, v[72:75] offset:672
	ds_write_b128 v188, v[76:79] offset:784
	ds_write_b128 v188, v[68:71] offset:896
	ds_write_b128 v188, v[60:63] offset:1008
	ds_write_b128 v188, v[52:55] offset:1120
	ds_write_b128 v188, v[44:47] offset:1232
	ds_write_b128 v188, v[36:39] offset:1344
	s_waitcnt lgkmcnt(0)
	s_barrier
	ds_read_b128 v[28:31], v183 offset:1456
	ds_read_b128 v[32:35], v183 offset:2912
	;; [unrolled: 1-line block ×3, first 2 shown]
	s_waitcnt lgkmcnt(2)
	v_mul_f64 v[40:41], v[114:115], v[30:31]
	v_mul_f64 v[42:43], v[114:115], v[28:29]
	s_waitcnt lgkmcnt(1)
	v_mul_f64 v[44:45], v[110:111], v[34:35]
	v_mul_f64 v[46:47], v[110:111], v[32:33]
	v_fma_f64 v[56:57], v[112:113], v[28:29], v[40:41]
	v_fma_f64 v[58:59], v[112:113], v[30:31], -v[42:43]
	ds_read_b128 v[40:43], v183
	v_fma_f64 v[60:61], v[108:109], v[32:33], v[44:45]
	v_fma_f64 v[62:63], v[108:109], v[34:35], -v[46:47]
	s_waitcnt lgkmcnt(1)
	v_mul_f64 v[44:45], v[86:87], v[38:39]
	v_mul_f64 v[46:47], v[86:87], v[36:37]
	ds_read_b128 v[28:31], v183 offset:5824
	ds_read_b128 v[32:35], v183 offset:7280
	s_waitcnt lgkmcnt(2)
	v_add_f64 v[48:49], v[40:41], v[56:57]
	v_add_f64 v[50:51], v[42:43], v[58:59]
	s_waitcnt lgkmcnt(1)
	v_mul_f64 v[52:53], v[82:83], v[30:31]
	v_mul_f64 v[54:55], v[82:83], v[28:29]
	v_fma_f64 v[64:65], v[84:85], v[36:37], v[44:45]
	v_fma_f64 v[66:67], v[84:85], v[38:39], -v[46:47]
	s_waitcnt lgkmcnt(0)
	v_mul_f64 v[44:45], v[102:103], v[34:35]
	v_add_f64 v[36:37], v[48:49], v[60:61]
	v_add_f64 v[38:39], v[50:51], v[62:63]
	v_mul_f64 v[46:47], v[102:103], v[32:33]
	v_fma_f64 v[68:69], v[80:81], v[28:29], v[52:53]
	v_fma_f64 v[70:71], v[80:81], v[30:31], -v[54:55]
	ds_read_b128 v[28:31], v183 offset:8736
	v_fma_f64 v[72:73], v[100:101], v[32:33], v[44:45]
	v_add_f64 v[48:49], v[36:37], v[64:65]
	v_add_f64 v[50:51], v[38:39], v[66:67]
	ds_read_b128 v[36:39], v183 offset:10192
	s_waitcnt lgkmcnt(1)
	v_mul_f64 v[52:53], v[98:99], v[30:31]
	v_mul_f64 v[54:55], v[98:99], v[28:29]
	v_fma_f64 v[74:75], v[100:101], v[34:35], -v[46:47]
	v_add_f64 v[44:45], v[48:49], v[68:69]
	v_add_f64 v[46:47], v[50:51], v[70:71]
	s_waitcnt lgkmcnt(0)
	v_mul_f64 v[48:49], v[94:95], v[38:39]
	v_fma_f64 v[32:33], v[96:97], v[28:29], v[52:53]
	v_fma_f64 v[34:35], v[96:97], v[30:31], -v[54:55]
	v_mul_f64 v[50:51], v[94:95], v[36:37]
	ds_read_b128 v[28:31], v183 offset:11648
	v_add_f64 v[52:53], v[44:45], v[72:73]
	v_add_f64 v[54:55], v[46:47], v[74:75]
	ds_read_b128 v[44:47], v183 offset:13104
	s_waitcnt lgkmcnt(1)
	v_mul_f64 v[76:77], v[90:91], v[30:31]
	v_mul_f64 v[78:79], v[90:91], v[28:29]
	v_fma_f64 v[36:37], v[92:93], v[36:37], v[48:49]
	v_fma_f64 v[38:39], v[92:93], v[38:39], -v[50:51]
	s_waitcnt lgkmcnt(0)
	v_mul_f64 v[80:81], v[126:127], v[46:47]
	v_add_f64 v[52:53], v[52:53], v[32:33]
	v_add_f64 v[54:55], v[54:55], v[34:35]
	v_mul_f64 v[82:83], v[126:127], v[44:45]
	v_fma_f64 v[76:77], v[88:89], v[28:29], v[76:77]
	v_fma_f64 v[78:79], v[88:89], v[30:31], -v[78:79]
	ds_read_b128 v[28:31], v183 offset:14560
	ds_read_b128 v[48:51], v183 offset:17472
	v_fma_f64 v[44:45], v[124:125], v[44:45], v[80:81]
	v_add_f64 v[84:85], v[52:53], v[36:37]
	v_add_f64 v[86:87], v[54:55], v[38:39]
	ds_read_b128 v[52:55], v183 offset:16016
	s_waitcnt lgkmcnt(2)
	v_mul_f64 v[88:89], v[122:123], v[30:31]
	v_mul_f64 v[92:93], v[122:123], v[28:29]
	v_fma_f64 v[46:47], v[124:125], v[46:47], -v[82:83]
	s_waitcnt lgkmcnt(1)
	v_mul_f64 v[90:91], v[118:119], v[48:49]
	v_add_f64 v[80:81], v[84:85], v[76:77]
	v_add_f64 v[82:83], v[86:87], v[78:79]
	v_mul_f64 v[84:85], v[118:119], v[50:51]
	v_fma_f64 v[86:87], v[120:121], v[28:29], v[88:89]
	v_fma_f64 v[88:89], v[120:121], v[30:31], -v[92:93]
	s_waitcnt lgkmcnt(0)
	v_mul_f64 v[28:29], v[106:107], v[54:55]
	v_mul_f64 v[30:31], v[106:107], v[52:53]
	v_fma_f64 v[50:51], v[116:117], v[50:51], -v[90:91]
	v_add_f64 v[80:81], v[80:81], v[44:45]
	v_add_f64 v[82:83], v[82:83], v[46:47]
	v_fma_f64 v[48:49], v[116:117], v[48:49], v[84:85]
	v_fma_f64 v[52:53], v[104:105], v[52:53], v[28:29]
	v_fma_f64 v[54:55], v[104:105], v[54:55], -v[30:31]
	v_add_f64 v[84:85], v[58:59], -v[50:51]
	v_add_f64 v[28:29], v[80:81], v[86:87]
	v_add_f64 v[30:31], v[82:83], v[88:89]
	;; [unrolled: 1-line block ×4, first 2 shown]
	v_add_f64 v[56:57], v[56:57], -v[48:49]
	v_add_f64 v[124:125], v[62:63], -v[54:55]
	v_mul_f64 v[82:83], v[84:85], s[4:5]
	v_add_f64 v[28:29], v[28:29], v[52:53]
	v_add_f64 v[30:31], v[30:31], v[54:55]
	v_mul_f64 v[90:91], v[58:59], s[0:1]
	v_mul_f64 v[96:97], v[84:85], s[2:3]
	;; [unrolled: 1-line block ×6, first 2 shown]
	v_add_f64 v[28:29], v[28:29], v[48:49]
	v_add_f64 v[30:31], v[30:31], v[50:51]
	v_mul_f64 v[48:49], v[84:85], s[16:17]
	v_mul_f64 v[50:51], v[58:59], s[18:19]
	;; [unrolled: 1-line block ×3, first 2 shown]
	v_add_f64 v[54:55], v[62:63], v[54:55]
	v_mul_f64 v[62:63], v[84:85], s[38:39]
	v_mul_f64 v[58:59], v[58:59], s[40:41]
	v_fma_f64 v[92:93], v[80:81], s[0:1], v[82:83]
	v_fma_f64 v[94:95], v[56:57], s[24:25], v[90:91]
	v_fma_f64 v[82:83], v[80:81], s[0:1], -v[82:83]
	v_fma_f64 v[90:91], v[56:57], s[4:5], v[90:91]
	v_fma_f64 v[100:101], v[80:81], s[18:19], v[48:49]
	v_fma_f64 v[102:103], v[56:57], s[20:21], v[50:51]
	v_fma_f64 v[48:49], v[80:81], s[18:19], -v[48:49]
	v_fma_f64 v[50:51], v[56:57], s[16:17], v[50:51]
	v_fma_f64 v[104:105], v[80:81], s[12:13], v[96:97]
	v_fma_f64 v[106:107], v[56:57], s[14:15], v[98:99]
	v_fma_f64 v[96:97], v[80:81], s[12:13], -v[96:97]
	v_fma_f64 v[98:99], v[56:57], s[2:3], v[98:99]
	v_fma_f64 v[116:117], v[80:81], s[26:27], v[108:109]
	v_fma_f64 v[118:119], v[56:57], s[28:29], v[110:111]
	v_fma_f64 v[108:109], v[80:81], s[26:27], -v[108:109]
	v_fma_f64 v[110:111], v[56:57], s[22:23], v[110:111]
	v_fma_f64 v[120:121], v[80:81], s[34:35], v[112:113]
	v_fma_f64 v[122:123], v[56:57], s[36:37], v[114:115]
	v_fma_f64 v[84:85], v[80:81], s[34:35], -v[112:113]
	v_fma_f64 v[112:113], v[56:57], s[30:31], v[114:115]
	v_add_f64 v[114:115], v[60:61], v[52:53]
	v_add_f64 v[52:53], v[60:61], -v[52:53]
	v_mul_f64 v[60:61], v[124:125], s[16:17]
	v_mul_f64 v[126:127], v[54:55], s[18:19]
	v_fma_f64 v[128:129], v[80:81], s[40:41], v[62:63]
	v_fma_f64 v[130:131], v[56:57], s[42:43], v[58:59]
	v_fma_f64 v[62:63], v[80:81], s[40:41], -v[62:63]
	v_fma_f64 v[56:57], v[56:57], s[38:39], v[58:59]
	v_add_f64 v[92:93], v[40:41], v[92:93]
	v_add_f64 v[94:95], v[42:43], v[94:95]
	;; [unrolled: 1-line block ×20, first 2 shown]
	v_fma_f64 v[84:85], v[114:115], s[18:19], v[60:61]
	v_fma_f64 v[112:113], v[52:53], s[20:21], v[126:127]
	v_add_f64 v[128:129], v[40:41], v[128:129]
	v_add_f64 v[130:131], v[42:43], v[130:131]
	;; [unrolled: 1-line block ×4, first 2 shown]
	v_mul_f64 v[56:57], v[124:125], s[22:23]
	v_mul_f64 v[62:63], v[54:55], s[26:27]
	v_add_f64 v[84:85], v[84:85], v[92:93]
	v_add_f64 v[92:93], v[112:113], v[94:95]
	v_fma_f64 v[60:61], v[114:115], s[18:19], -v[60:61]
	v_fma_f64 v[94:95], v[52:53], s[16:17], v[126:127]
	v_mul_f64 v[112:113], v[124:125], s[38:39]
	v_mul_f64 v[126:127], v[54:55], s[40:41]
	v_fma_f64 v[132:133], v[114:115], s[26:27], v[56:57]
	v_fma_f64 v[134:135], v[52:53], s[28:29], v[62:63]
	v_fma_f64 v[56:57], v[114:115], s[26:27], -v[56:57]
	v_fma_f64 v[62:63], v[52:53], s[22:23], v[62:63]
	v_add_f64 v[60:61], v[60:61], v[82:83]
	v_add_f64 v[82:83], v[94:95], v[90:91]
	v_fma_f64 v[90:91], v[114:115], s[40:41], v[112:113]
	v_fma_f64 v[94:95], v[52:53], s[42:43], v[126:127]
	v_add_f64 v[100:101], v[132:133], v[100:101]
	v_add_f64 v[102:103], v[134:135], v[102:103]
	v_add_f64 v[48:49], v[56:57], v[48:49]
	v_add_f64 v[50:51], v[62:63], v[50:51]
	v_mul_f64 v[56:57], v[124:125], s[36:37]
	v_mul_f64 v[62:63], v[54:55], s[34:35]
	v_add_f64 v[90:91], v[90:91], v[104:105]
	v_add_f64 v[94:95], v[94:95], v[106:107]
	v_mul_f64 v[104:105], v[124:125], s[14:15]
	v_mul_f64 v[106:107], v[54:55], s[12:13]
	v_fma_f64 v[112:113], v[114:115], s[40:41], -v[112:113]
	v_fma_f64 v[126:127], v[52:53], s[38:39], v[126:127]
	v_fma_f64 v[132:133], v[114:115], s[34:35], v[56:57]
	;; [unrolled: 1-line block ×3, first 2 shown]
	v_fma_f64 v[56:57], v[114:115], s[34:35], -v[56:57]
	v_fma_f64 v[62:63], v[52:53], s[36:37], v[62:63]
	v_fma_f64 v[136:137], v[114:115], s[12:13], v[104:105]
	;; [unrolled: 1-line block ×3, first 2 shown]
	v_add_f64 v[96:97], v[112:113], v[96:97]
	v_mul_f64 v[54:55], v[54:55], s[0:1]
	v_add_f64 v[112:113], v[132:133], v[116:117]
	v_add_f64 v[116:117], v[134:135], v[118:119]
	v_add_f64 v[118:119], v[66:67], -v[88:89]
	v_add_f64 v[66:67], v[66:67], v[88:89]
	v_add_f64 v[56:57], v[56:57], v[108:109]
	;; [unrolled: 1-line block ×5, first 2 shown]
	v_mul_f64 v[88:89], v[124:125], s[24:25]
	v_fma_f64 v[104:105], v[114:115], s[12:13], -v[104:105]
	v_fma_f64 v[106:107], v[52:53], s[14:15], v[106:107]
	v_add_f64 v[120:121], v[64:65], v[86:87]
	v_add_f64 v[64:65], v[64:65], -v[86:87]
	v_mul_f64 v[86:87], v[118:119], s[2:3]
	v_mul_f64 v[122:123], v[66:67], s[12:13]
	v_add_f64 v[98:99], v[126:127], v[98:99]
	v_fma_f64 v[124:125], v[114:115], s[0:1], v[88:89]
	v_fma_f64 v[126:127], v[52:53], s[4:5], v[54:55]
	v_fma_f64 v[88:89], v[114:115], s[0:1], -v[88:89]
	v_fma_f64 v[52:53], v[52:53], s[24:25], v[54:55]
	v_add_f64 v[54:55], v[104:105], v[58:59]
	v_add_f64 v[58:59], v[106:107], v[80:81]
	v_fma_f64 v[80:81], v[120:121], s[12:13], v[86:87]
	v_fma_f64 v[104:105], v[64:65], s[14:15], v[122:123]
	v_fma_f64 v[86:87], v[120:121], s[12:13], -v[86:87]
	v_add_f64 v[106:107], v[124:125], v[128:129]
	v_add_f64 v[40:41], v[88:89], v[40:41]
	;; [unrolled: 1-line block ×3, first 2 shown]
	v_mul_f64 v[52:53], v[118:119], s[38:39]
	v_mul_f64 v[88:89], v[66:67], s[40:41]
	v_add_f64 v[80:81], v[80:81], v[84:85]
	v_add_f64 v[84:85], v[104:105], v[92:93]
	v_fma_f64 v[92:93], v[64:65], s[2:3], v[122:123]
	v_mul_f64 v[104:105], v[118:119], s[28:29]
	v_mul_f64 v[122:123], v[66:67], s[26:27]
	v_add_f64 v[114:115], v[126:127], v[130:131]
	v_fma_f64 v[124:125], v[120:121], s[40:41], v[52:53]
	v_fma_f64 v[126:127], v[64:65], s[42:43], v[88:89]
	v_fma_f64 v[52:53], v[120:121], s[40:41], -v[52:53]
	v_fma_f64 v[88:89], v[64:65], s[38:39], v[88:89]
	v_add_f64 v[60:61], v[86:87], v[60:61]
	v_add_f64 v[82:83], v[92:93], v[82:83]
	v_fma_f64 v[86:87], v[120:121], s[26:27], v[104:105]
	v_fma_f64 v[92:93], v[64:65], s[22:23], v[122:123]
	v_add_f64 v[100:101], v[124:125], v[100:101]
	v_add_f64 v[102:103], v[126:127], v[102:103]
	;; [unrolled: 1-line block ×4, first 2 shown]
	v_mul_f64 v[52:53], v[118:119], s[24:25]
	v_mul_f64 v[88:89], v[66:67], s[0:1]
	v_add_f64 v[86:87], v[86:87], v[90:91]
	v_add_f64 v[90:91], v[92:93], v[94:95]
	v_mul_f64 v[92:93], v[118:119], s[16:17]
	v_mul_f64 v[94:95], v[66:67], s[18:19]
	v_fma_f64 v[104:105], v[120:121], s[26:27], -v[104:105]
	v_fma_f64 v[122:123], v[64:65], s[28:29], v[122:123]
	v_fma_f64 v[124:125], v[120:121], s[0:1], v[52:53]
	;; [unrolled: 1-line block ×3, first 2 shown]
	v_fma_f64 v[52:53], v[120:121], s[0:1], -v[52:53]
	v_fma_f64 v[88:89], v[64:65], s[24:25], v[88:89]
	v_fma_f64 v[128:129], v[120:121], s[18:19], v[92:93]
	;; [unrolled: 1-line block ×3, first 2 shown]
	v_add_f64 v[96:97], v[104:105], v[96:97]
	v_mul_f64 v[66:67], v[66:67], s[34:35]
	v_add_f64 v[104:105], v[124:125], v[112:113]
	v_add_f64 v[112:113], v[126:127], v[116:117]
	;; [unrolled: 1-line block ×5, first 2 shown]
	v_add_f64 v[108:109], v[70:71], -v[46:47]
	v_add_f64 v[46:47], v[70:71], v[46:47]
	v_add_f64 v[88:89], v[130:131], v[110:111]
	v_mul_f64 v[70:71], v[118:119], s[30:31]
	v_fma_f64 v[92:93], v[120:121], s[18:19], -v[92:93]
	v_add_f64 v[110:111], v[68:69], v[44:45]
	v_add_f64 v[44:45], v[68:69], -v[44:45]
	v_add_f64 v[98:99], v[122:123], v[98:99]
	v_mul_f64 v[68:69], v[108:109], s[22:23]
	v_mul_f64 v[116:117], v[46:47], s[26:27]
	v_fma_f64 v[94:95], v[64:65], s[16:17], v[94:95]
	v_fma_f64 v[118:119], v[120:121], s[34:35], v[70:71]
	;; [unrolled: 1-line block ×3, first 2 shown]
	v_fma_f64 v[70:71], v[120:121], s[34:35], -v[70:71]
	v_fma_f64 v[64:65], v[64:65], s[30:31], v[66:67]
	v_add_f64 v[54:55], v[92:93], v[54:55]
	v_fma_f64 v[66:67], v[110:111], s[26:27], v[68:69]
	v_fma_f64 v[92:93], v[44:45], s[28:29], v[116:117]
	v_add_f64 v[58:59], v[94:95], v[58:59]
	v_add_f64 v[94:95], v[118:119], v[106:107]
	;; [unrolled: 1-line block ×4, first 2 shown]
	v_mul_f64 v[70:71], v[46:47], s[34:35]
	v_fma_f64 v[68:69], v[110:111], s[26:27], -v[68:69]
	v_add_f64 v[66:67], v[66:67], v[80:81]
	v_add_f64 v[80:81], v[92:93], v[84:85]
	v_fma_f64 v[84:85], v[44:45], s[22:23], v[116:117]
	v_mul_f64 v[114:115], v[46:47], s[0:1]
	v_add_f64 v[42:43], v[64:65], v[42:43]
	v_mul_f64 v[64:65], v[108:109], s[36:37]
	v_fma_f64 v[118:119], v[44:45], s[30:31], v[70:71]
	v_fma_f64 v[70:71], v[44:45], s[36:37], v[70:71]
	v_add_f64 v[60:61], v[68:69], v[60:61]
	v_mul_f64 v[92:93], v[108:109], s[24:25]
	v_add_f64 v[68:69], v[84:85], v[82:83]
	v_fma_f64 v[84:85], v[44:45], s[4:5], v[114:115]
	v_fma_f64 v[116:117], v[110:111], s[34:35], v[64:65]
	v_fma_f64 v[64:65], v[110:111], s[34:35], -v[64:65]
	v_add_f64 v[50:51], v[70:71], v[50:51]
	v_mul_f64 v[70:71], v[46:47], s[12:13]
	v_fma_f64 v[82:83], v[110:111], s[0:1], v[92:93]
	v_add_f64 v[102:103], v[118:119], v[102:103]
	v_add_f64 v[84:85], v[84:85], v[90:91]
	v_fma_f64 v[90:91], v[44:45], s[24:25], v[114:115]
	v_mul_f64 v[114:115], v[46:47], s[40:41]
	v_add_f64 v[48:49], v[64:65], v[48:49]
	v_mul_f64 v[64:65], v[108:109], s[2:3]
	v_fma_f64 v[118:119], v[44:45], s[14:15], v[70:71]
	v_fma_f64 v[70:71], v[44:45], s[2:3], v[70:71]
	v_add_f64 v[100:101], v[116:117], v[100:101]
	v_add_f64 v[82:83], v[82:83], v[86:87]
	;; [unrolled: 1-line block ×3, first 2 shown]
	v_fma_f64 v[98:99], v[44:45], s[38:39], v[114:115]
	v_fma_f64 v[86:87], v[110:111], s[0:1], -v[92:93]
	v_mul_f64 v[92:93], v[108:109], s[42:43]
	v_fma_f64 v[116:117], v[110:111], s[12:13], v[64:65]
	v_fma_f64 v[64:65], v[110:111], s[12:13], -v[64:65]
	v_add_f64 v[56:57], v[70:71], v[56:57]
	v_mul_f64 v[46:47], v[46:47], s[18:19]
	v_add_f64 v[112:113], v[118:119], v[112:113]
	v_add_f64 v[70:71], v[98:99], v[88:89]
	v_add_f64 v[88:89], v[74:75], -v[78:79]
	v_add_f64 v[86:87], v[86:87], v[96:97]
	v_fma_f64 v[96:97], v[110:111], s[40:41], v[92:93]
	v_add_f64 v[52:53], v[64:65], v[52:53]
	v_mul_f64 v[64:65], v[108:109], s[20:21]
	v_add_f64 v[74:75], v[74:75], v[78:79]
	v_fma_f64 v[78:79], v[110:111], s[40:41], -v[92:93]
	v_fma_f64 v[92:93], v[44:45], s[42:43], v[114:115]
	v_add_f64 v[108:109], v[72:73], v[76:77]
	v_add_f64 v[72:73], v[72:73], -v[76:77]
	v_mul_f64 v[76:77], v[88:89], s[30:31]
	v_add_f64 v[62:63], v[96:97], v[62:63]
	v_fma_f64 v[96:97], v[110:111], s[18:19], v[64:65]
	v_fma_f64 v[98:99], v[44:45], s[16:17], v[46:47]
	v_mul_f64 v[114:115], v[74:75], s[34:35]
	v_fma_f64 v[64:65], v[110:111], s[18:19], -v[64:65]
	v_fma_f64 v[44:45], v[44:45], s[20:21], v[46:47]
	v_add_f64 v[46:47], v[78:79], v[54:55]
	v_add_f64 v[54:55], v[92:93], v[58:59]
	v_fma_f64 v[92:93], v[108:109], s[34:35], v[76:77]
	v_add_f64 v[58:59], v[96:97], v[94:95]
	v_fma_f64 v[76:77], v[108:109], s[34:35], -v[76:77]
	v_fma_f64 v[94:95], v[72:73], s[36:37], v[114:115]
	v_add_f64 v[40:41], v[64:65], v[40:41]
	v_add_f64 v[42:43], v[44:45], v[42:43]
	v_mul_f64 v[44:45], v[88:89], s[14:15]
	v_mul_f64 v[64:65], v[74:75], s[12:13]
	v_add_f64 v[66:67], v[92:93], v[66:67]
	v_mul_f64 v[92:93], v[88:89], s[16:17]
	v_add_f64 v[78:79], v[98:99], v[106:107]
	v_fma_f64 v[96:97], v[72:73], s[30:31], v[114:115]
	v_add_f64 v[80:81], v[94:95], v[80:81]
	v_mul_f64 v[94:95], v[74:75], s[18:19]
	v_fma_f64 v[98:99], v[108:109], s[12:13], v[44:45]
	v_fma_f64 v[106:107], v[72:73], s[2:3], v[64:65]
	v_add_f64 v[60:61], v[76:77], v[60:61]
	v_fma_f64 v[44:45], v[108:109], s[12:13], -v[44:45]
	v_fma_f64 v[64:65], v[72:73], s[14:15], v[64:65]
	v_fma_f64 v[76:77], v[108:109], s[18:19], v[92:93]
	v_add_f64 v[68:69], v[96:97], v[68:69]
	v_fma_f64 v[96:97], v[72:73], s[20:21], v[94:95]
	v_add_f64 v[98:99], v[98:99], v[100:101]
	v_add_f64 v[100:101], v[106:107], v[102:103]
	v_mul_f64 v[106:107], v[74:75], s[40:41]
	v_add_f64 v[44:45], v[44:45], v[48:49]
	v_add_f64 v[48:49], v[64:65], v[50:51]
	;; [unrolled: 1-line block ×3, first 2 shown]
	v_fma_f64 v[82:83], v[72:73], s[16:17], v[94:95]
	v_mul_f64 v[94:95], v[88:89], s[24:25]
	v_mul_f64 v[102:103], v[88:89], s[42:43]
	v_add_f64 v[64:65], v[96:97], v[84:85]
	v_fma_f64 v[76:77], v[108:109], s[18:19], -v[92:93]
	v_fma_f64 v[92:93], v[72:73], s[38:39], v[106:107]
	v_mul_f64 v[96:97], v[74:75], s[0:1]
	v_add_f64 v[104:105], v[116:117], v[104:105]
	v_add_f64 v[82:83], v[82:83], v[90:91]
	v_fma_f64 v[90:91], v[108:109], s[0:1], v[94:95]
	v_fma_f64 v[84:85], v[108:109], s[40:41], v[102:103]
	v_fma_f64 v[102:103], v[108:109], s[40:41], -v[102:103]
	v_fma_f64 v[106:107], v[72:73], s[42:43], v[106:107]
	v_add_f64 v[76:77], v[76:77], v[86:87]
	v_add_f64 v[86:87], v[92:93], v[112:113]
	v_fma_f64 v[92:93], v[72:73], s[4:5], v[96:97]
	v_mul_f64 v[88:89], v[88:89], s[22:23]
	v_add_f64 v[90:91], v[90:91], v[62:63]
	v_add_f64 v[62:63], v[34:35], -v[38:39]
	v_add_f64 v[84:85], v[84:85], v[104:105]
	v_add_f64 v[102:103], v[102:103], v[52:53]
	;; [unrolled: 1-line block ×3, first 2 shown]
	v_fma_f64 v[52:53], v[108:109], s[0:1], -v[94:95]
	v_fma_f64 v[56:57], v[72:73], s[24:25], v[96:97]
	v_mul_f64 v[74:75], v[74:75], s[26:27]
	v_add_f64 v[70:71], v[92:93], v[70:71]
	v_add_f64 v[92:93], v[34:35], v[38:39]
	v_fma_f64 v[34:35], v[108:109], s[26:27], v[88:89]
	v_add_f64 v[106:107], v[32:33], v[36:37]
	v_add_f64 v[110:111], v[32:33], -v[36:37]
	v_mul_f64 v[32:33], v[62:63], s[38:39]
	v_add_f64 v[94:95], v[52:53], v[46:47]
	v_add_f64 v[96:97], v[56:57], v[54:55]
	v_fma_f64 v[38:39], v[72:73], s[28:29], v[74:75]
	v_mul_f64 v[36:37], v[92:93], s[40:41]
	v_fma_f64 v[46:47], v[108:109], s[26:27], -v[88:89]
	v_fma_f64 v[52:53], v[72:73], s[22:23], v[74:75]
	v_add_f64 v[72:73], v[34:35], v[58:59]
	v_mul_f64 v[54:55], v[62:63], s[24:25]
	v_mul_f64 v[56:57], v[92:93], s[0:1]
	v_fma_f64 v[34:35], v[106:107], s[40:41], v[32:33]
	v_add_f64 v[74:75], v[38:39], v[78:79]
	v_fma_f64 v[38:39], v[110:111], s[42:43], v[36:37]
	v_add_f64 v[78:79], v[46:47], v[40:41]
	v_add_f64 v[88:89], v[52:53], v[42:43]
	v_fma_f64 v[40:41], v[106:107], s[40:41], -v[32:33]
	v_fma_f64 v[42:43], v[110:111], s[38:39], v[36:37]
	v_fma_f64 v[46:47], v[106:107], s[0:1], v[54:55]
	;; [unrolled: 1-line block ×3, first 2 shown]
	v_add_f64 v[32:33], v[34:35], v[66:67]
	v_mul_f64 v[58:59], v[62:63], s[30:31]
	v_mul_f64 v[66:67], v[92:93], s[34:35]
	v_add_f64 v[34:35], v[38:39], v[80:81]
	v_add_f64 v[36:37], v[40:41], v[60:61]
	;; [unrolled: 1-line block ×5, first 2 shown]
	v_fma_f64 v[46:47], v[106:107], s[0:1], -v[54:55]
	v_fma_f64 v[52:53], v[110:111], s[24:25], v[56:57]
	v_fma_f64 v[54:55], v[106:107], s[34:35], v[58:59]
	;; [unrolled: 1-line block ×3, first 2 shown]
	v_mul_f64 v[68:69], v[92:93], s[18:19]
	v_fma_f64 v[58:59], v[106:107], s[34:35], -v[58:59]
	v_fma_f64 v[66:67], v[110:111], s[30:31], v[66:67]
	v_mul_f64 v[60:61], v[62:63], s[20:21]
	v_add_f64 v[44:45], v[46:47], v[44:45]
	v_add_f64 v[46:47], v[52:53], v[48:49]
	;; [unrolled: 1-line block ×4, first 2 shown]
	v_fma_f64 v[64:65], v[110:111], s[16:17], v[68:69]
	v_add_f64 v[52:53], v[58:59], v[76:77]
	v_add_f64 v[54:55], v[66:67], v[82:83]
	v_fma_f64 v[66:67], v[110:111], s[20:21], v[68:69]
	v_mul_f64 v[68:69], v[62:63], s[22:23]
	v_mul_f64 v[76:77], v[92:93], s[26:27]
	v_fma_f64 v[56:57], v[106:107], s[18:19], v[60:61]
	v_mul_f64 v[80:81], v[92:93], s[12:13]
	v_add_f64 v[58:59], v[64:65], v[86:87]
	v_mul_f64 v[64:65], v[62:63], s[14:15]
	v_fma_f64 v[60:61], v[106:107], s[18:19], -v[60:61]
	v_add_f64 v[62:63], v[66:67], v[104:105]
	v_fma_f64 v[66:67], v[106:107], s[26:27], v[68:69]
	v_fma_f64 v[82:83], v[110:111], s[28:29], v[76:77]
	v_add_f64 v[56:57], v[56:57], v[84:85]
	v_fma_f64 v[86:87], v[110:111], s[2:3], v[80:81]
	v_fma_f64 v[76:77], v[110:111], s[22:23], v[76:77]
	;; [unrolled: 1-line block ×3, first 2 shown]
	v_fma_f64 v[92:93], v[106:107], s[12:13], -v[64:65]
	v_fma_f64 v[80:81], v[110:111], s[14:15], v[80:81]
	v_fma_f64 v[68:69], v[106:107], s[26:27], -v[68:69]
	v_add_f64 v[64:65], v[66:67], v[90:91]
	v_add_f64 v[66:67], v[82:83], v[70:71]
	;; [unrolled: 1-line block ×9, first 2 shown]
	ds_write_b128 v183, v[28:31]
	ds_write_b128 v183, v[32:35] offset:1456
	ds_write_b128 v183, v[40:43] offset:2912
	ds_write_b128 v183, v[48:51] offset:4368
	ds_write_b128 v183, v[56:59] offset:5824
	ds_write_b128 v183, v[64:67] offset:7280
	ds_write_b128 v183, v[72:75] offset:8736
	ds_write_b128 v183, v[76:79] offset:10192
	ds_write_b128 v183, v[68:71] offset:11648
	ds_write_b128 v183, v[60:63] offset:13104
	ds_write_b128 v183, v[52:55] offset:14560
	ds_write_b128 v183, v[44:47] offset:16016
	ds_write_b128 v183, v[36:39] offset:17472
	s_waitcnt lgkmcnt(0)
	s_barrier
	ds_read_b128 v[28:31], v183
	ds_read_b128 v[32:35], v183 offset:2704
	v_mad_u64_u32 v[36:37], s[0:1], s10, v182, 0
	s_mov_b32 s2, 0x43156c6a
	s_waitcnt lgkmcnt(1)
	v_mul_f64 v[38:39], v[26:27], v[30:31]
	v_mul_f64 v[26:27], v[26:27], v[28:29]
	s_mov_b32 s3, 0x3f4bb2f6
	v_mad_u64_u32 v[40:41], s[0:1], s11, v182, v[37:38]
	v_mad_u64_u32 v[41:42], s[0:1], s8, v184, 0
	v_fma_f64 v[28:29], v[24:25], v[28:29], v[38:39]
	v_fma_f64 v[26:27], v[24:25], v[30:31], -v[26:27]
	v_mov_b32_e32 v24, v42
	v_mad_u64_u32 v[30:31], s[0:1], s9, v184, v[24:25]
	v_mov_b32_e32 v37, v40
	v_mov_b32_e32 v42, v30
	s_waitcnt lgkmcnt(0)
	v_mul_f64 v[30:31], v[18:19], v[34:35]
	v_mul_f64 v[18:19], v[18:19], v[32:33]
	;; [unrolled: 1-line block ×4, first 2 shown]
	v_lshlrev_b64 v[28:29], 4, v[36:37]
	v_mov_b32_e32 v36, s7
	v_add_co_u32_e64 v37, s[0:1], s6, v28
	v_fma_f64 v[30:31], v[16:17], v[32:33], v[30:31]
	v_fma_f64 v[32:33], v[16:17], v[34:35], -v[18:19]
	ds_read_b128 v[16:19], v183 offset:5408
	v_addc_co_u32_e64 v36, s[0:1], v36, v29, s[0:1]
	v_lshlrev_b64 v[28:29], 4, v[41:42]
	v_add_co_u32_e64 v34, s[0:1], v37, v28
	v_addc_co_u32_e64 v35, s[0:1], v36, v29, s[0:1]
	global_store_dwordx4 v[34:35], v[24:27], off
	s_mul_i32 s0, s9, 0xa9
	v_mul_f64 v[24:25], v[30:31], s[2:3]
	ds_read_b128 v[28:31], v183 offset:8112
	v_mul_f64 v[26:27], v[32:33], s[2:3]
	s_waitcnt lgkmcnt(1)
	v_mul_f64 v[32:33], v[22:23], v[18:19]
	v_mul_f64 v[22:23], v[22:23], v[16:17]
	s_mul_hi_u32 s1, s8, 0xa9
	s_add_i32 s1, s1, s0
	s_mul_i32 s0, s8, 0xa9
	s_lshl_b64 s[4:5], s[0:1], 4
	v_mov_b32_e32 v36, s5
	v_add_co_u32_e64 v34, s[0:1], s4, v34
	v_fma_f64 v[16:17], v[20:21], v[16:17], v[32:33]
	v_fma_f64 v[18:19], v[20:21], v[18:19], -v[22:23]
	s_waitcnt lgkmcnt(0)
	v_mul_f64 v[32:33], v[6:7], v[30:31]
	v_mul_f64 v[6:7], v[6:7], v[28:29]
	ds_read_b128 v[20:23], v183 offset:10816
	v_addc_co_u32_e64 v35, s[0:1], v35, v36, s[0:1]
	global_store_dwordx4 v[34:35], v[24:27], off
	v_mul_f64 v[16:17], v[16:17], s[2:3]
	v_mul_f64 v[18:19], v[18:19], s[2:3]
	v_fma_f64 v[24:25], v[4:5], v[28:29], v[32:33]
	v_fma_f64 v[26:27], v[4:5], v[30:31], -v[6:7]
	ds_read_b128 v[4:7], v183 offset:13520
	s_waitcnt lgkmcnt(1)
	v_mul_f64 v[28:29], v[2:3], v[22:23]
	v_mul_f64 v[2:3], v[2:3], v[20:21]
	v_add_co_u32_e64 v30, s[0:1], s4, v34
	v_addc_co_u32_e64 v31, s[0:1], v35, v36, s[0:1]
	global_store_dwordx4 v[30:31], v[16:19], off
	v_add_co_u32_e64 v30, s[0:1], s4, v30
	v_mul_f64 v[16:17], v[24:25], s[2:3]
	v_mul_f64 v[18:19], v[26:27], s[2:3]
	ds_read_b128 v[24:27], v183 offset:16224
	v_fma_f64 v[2:3], v[0:1], v[22:23], -v[2:3]
	s_waitcnt lgkmcnt(1)
	v_mul_f64 v[22:23], v[10:11], v[6:7]
	v_mul_f64 v[10:11], v[10:11], v[4:5]
	v_fma_f64 v[20:21], v[0:1], v[20:21], v[28:29]
	s_waitcnt lgkmcnt(0)
	v_mul_f64 v[28:29], v[14:15], v[26:27]
	v_mul_f64 v[14:15], v[14:15], v[24:25]
	v_addc_co_u32_e64 v31, s[0:1], v31, v36, s[0:1]
	v_mul_f64 v[2:3], v[2:3], s[2:3]
	v_fma_f64 v[4:5], v[8:9], v[4:5], v[22:23]
	v_fma_f64 v[6:7], v[8:9], v[6:7], -v[10:11]
	v_mul_f64 v[0:1], v[20:21], s[2:3]
	v_fma_f64 v[8:9], v[12:13], v[24:25], v[28:29]
	v_fma_f64 v[10:11], v[12:13], v[26:27], -v[14:15]
	v_add_co_u32_e64 v12, s[0:1], s4, v30
	v_addc_co_u32_e64 v13, s[0:1], v31, v36, s[0:1]
	v_mul_f64 v[4:5], v[4:5], s[2:3]
	v_mul_f64 v[6:7], v[6:7], s[2:3]
	;; [unrolled: 1-line block ×4, first 2 shown]
	global_store_dwordx4 v[30:31], v[16:19], off
	global_store_dwordx4 v[12:13], v[0:3], off
	s_nop 0
	v_add_co_u32_e64 v0, s[0:1], s4, v12
	v_addc_co_u32_e64 v1, s[0:1], v13, v36, s[0:1]
	global_store_dwordx4 v[0:1], v[4:7], off
	v_add_co_u32_e64 v0, s[0:1], s4, v0
	v_addc_co_u32_e64 v1, s[0:1], v1, v36, s[0:1]
	global_store_dwordx4 v[0:1], v[8:11], off
	s_and_b64 exec, exec, vcc
	s_cbranch_execz .LBB0_15
; %bb.14:
	s_movk_i32 s0, 0x1000
	global_load_dwordx4 v[2:5], v[180:181], off offset:1456
	v_add_co_u32_e32 v14, vcc, s0, v180
	v_addc_co_u32_e32 v15, vcc, 0, v181, vcc
	s_movk_i32 s0, 0x2000
	global_load_dwordx4 v[6:9], v[14:15], off offset:64
	global_load_dwordx4 v[10:13], v[14:15], off offset:2768
	v_add_co_u32_e32 v22, vcc, s0, v180
	v_addc_co_u32_e32 v23, vcc, 0, v181, vcc
	global_load_dwordx4 v[14:17], v[22:23], off offset:1376
	global_load_dwordx4 v[18:21], v[22:23], off offset:4080
	ds_read_b128 v[22:25], v183 offset:1456
	ds_read_b128 v[26:29], v183 offset:4160
	v_mov_b32_e32 v46, 0xffffc650
	ds_read_b128 v[30:33], v183 offset:6864
	ds_read_b128 v[34:37], v183 offset:9568
	;; [unrolled: 1-line block ×4, first 2 shown]
	v_mad_u64_u32 v[46:47], s[0:1], s8, v46, v[0:1]
	v_mov_b32_e32 v64, s5
	s_movk_i32 s5, 0x3000
	s_mul_i32 s6, s9, 0xffffc650
	v_add_co_u32_e32 v48, vcc, s5, v180
	s_sub_i32 s0, s6, s8
	v_addc_co_u32_e32 v49, vcc, 0, v181, vcc
	v_add_u32_e32 v47, s0, v47
	v_add_co_u32_e32 v50, vcc, s4, v46
	v_addc_co_u32_e32 v51, vcc, v47, v64, vcc
	v_add_co_u32_e32 v52, vcc, s4, v50
	v_addc_co_u32_e32 v53, vcc, v51, v64, vcc
	;; [unrolled: 2-line block ×3, first 2 shown]
	s_movk_i32 s0, 0x4000
	s_waitcnt vmcnt(4) lgkmcnt(5)
	v_mul_f64 v[0:1], v[24:25], v[4:5]
	v_mul_f64 v[4:5], v[22:23], v[4:5]
	s_waitcnt vmcnt(3) lgkmcnt(4)
	v_mul_f64 v[56:57], v[28:29], v[8:9]
	v_mul_f64 v[8:9], v[26:27], v[8:9]
	;; [unrolled: 3-line block ×3, first 2 shown]
	v_fma_f64 v[0:1], v[22:23], v[2:3], v[0:1]
	s_waitcnt vmcnt(1) lgkmcnt(2)
	v_mul_f64 v[60:61], v[36:37], v[16:17]
	v_mul_f64 v[16:17], v[34:35], v[16:17]
	s_waitcnt vmcnt(0) lgkmcnt(1)
	v_mul_f64 v[62:63], v[40:41], v[20:21]
	v_mul_f64 v[20:21], v[38:39], v[20:21]
	v_fma_f64 v[2:3], v[2:3], v[24:25], -v[4:5]
	v_fma_f64 v[4:5], v[26:27], v[6:7], v[56:57]
	v_fma_f64 v[6:7], v[6:7], v[28:29], -v[8:9]
	v_fma_f64 v[8:9], v[30:31], v[10:11], v[58:59]
	;; [unrolled: 2-line block ×4, first 2 shown]
	v_fma_f64 v[18:19], v[18:19], v[40:41], -v[20:21]
	v_mul_f64 v[0:1], v[0:1], s[2:3]
	v_mul_f64 v[2:3], v[2:3], s[2:3]
	;; [unrolled: 1-line block ×10, first 2 shown]
	v_add_co_u32_e32 v20, vcc, s4, v54
	v_addc_co_u32_e32 v21, vcc, v55, v64, vcc
	global_store_dwordx4 v[46:47], v[0:3], off
	global_store_dwordx4 v[50:51], v[4:7], off
	;; [unrolled: 1-line block ×5, first 2 shown]
	global_load_dwordx4 v[0:3], v[48:49], off offset:2688
	s_waitcnt vmcnt(0) lgkmcnt(0)
	v_mul_f64 v[4:5], v[44:45], v[2:3]
	v_mul_f64 v[2:3], v[42:43], v[2:3]
	v_fma_f64 v[4:5], v[42:43], v[0:1], v[4:5]
	v_fma_f64 v[2:3], v[0:1], v[44:45], -v[2:3]
	v_mul_f64 v[0:1], v[4:5], s[2:3]
	v_mul_f64 v[2:3], v[2:3], s[2:3]
	v_add_co_u32_e32 v4, vcc, s0, v180
	v_addc_co_u32_e32 v5, vcc, 0, v181, vcc
	v_add_co_u32_e32 v8, vcc, s4, v20
	v_addc_co_u32_e32 v9, vcc, v21, v64, vcc
	global_store_dwordx4 v[8:9], v[0:3], off
	global_load_dwordx4 v[0:3], v[4:5], off offset:1296
	ds_read_b128 v[4:7], v183 offset:17680
	s_waitcnt vmcnt(0) lgkmcnt(0)
	v_mul_f64 v[10:11], v[6:7], v[2:3]
	v_mul_f64 v[2:3], v[4:5], v[2:3]
	v_fma_f64 v[4:5], v[4:5], v[0:1], v[10:11]
	v_fma_f64 v[2:3], v[0:1], v[6:7], -v[2:3]
	v_mul_f64 v[0:1], v[4:5], s[2:3]
	v_mul_f64 v[2:3], v[2:3], s[2:3]
	v_add_co_u32_e32 v4, vcc, s4, v8
	v_addc_co_u32_e32 v5, vcc, v9, v64, vcc
	global_store_dwordx4 v[4:5], v[0:3], off
.LBB0_15:
	s_endpgm
	.section	.rodata,"a",@progbits
	.p2align	6, 0x0
	.amdhsa_kernel bluestein_single_back_len1183_dim1_dp_op_CI_CI
		.amdhsa_group_segment_fixed_size 37856
		.amdhsa_private_segment_fixed_size 0
		.amdhsa_kernarg_size 104
		.amdhsa_user_sgpr_count 6
		.amdhsa_user_sgpr_private_segment_buffer 1
		.amdhsa_user_sgpr_dispatch_ptr 0
		.amdhsa_user_sgpr_queue_ptr 0
		.amdhsa_user_sgpr_kernarg_segment_ptr 1
		.amdhsa_user_sgpr_dispatch_id 0
		.amdhsa_user_sgpr_flat_scratch_init 0
		.amdhsa_user_sgpr_private_segment_size 0
		.amdhsa_uses_dynamic_stack 0
		.amdhsa_system_sgpr_private_segment_wavefront_offset 0
		.amdhsa_system_sgpr_workgroup_id_x 1
		.amdhsa_system_sgpr_workgroup_id_y 0
		.amdhsa_system_sgpr_workgroup_id_z 0
		.amdhsa_system_sgpr_workgroup_info 0
		.amdhsa_system_vgpr_workitem_id 0
		.amdhsa_next_free_vgpr 251
		.amdhsa_next_free_sgpr 50
		.amdhsa_reserve_vcc 1
		.amdhsa_reserve_flat_scratch 0
		.amdhsa_float_round_mode_32 0
		.amdhsa_float_round_mode_16_64 0
		.amdhsa_float_denorm_mode_32 3
		.amdhsa_float_denorm_mode_16_64 3
		.amdhsa_dx10_clamp 1
		.amdhsa_ieee_mode 1
		.amdhsa_fp16_overflow 0
		.amdhsa_exception_fp_ieee_invalid_op 0
		.amdhsa_exception_fp_denorm_src 0
		.amdhsa_exception_fp_ieee_div_zero 0
		.amdhsa_exception_fp_ieee_overflow 0
		.amdhsa_exception_fp_ieee_underflow 0
		.amdhsa_exception_fp_ieee_inexact 0
		.amdhsa_exception_int_div_zero 0
	.end_amdhsa_kernel
	.text
.Lfunc_end0:
	.size	bluestein_single_back_len1183_dim1_dp_op_CI_CI, .Lfunc_end0-bluestein_single_back_len1183_dim1_dp_op_CI_CI
                                        ; -- End function
	.section	.AMDGPU.csdata,"",@progbits
; Kernel info:
; codeLenInByte = 23784
; NumSgprs: 54
; NumVgprs: 251
; ScratchSize: 0
; MemoryBound: 0
; FloatMode: 240
; IeeeMode: 1
; LDSByteSize: 37856 bytes/workgroup (compile time only)
; SGPRBlocks: 6
; VGPRBlocks: 62
; NumSGPRsForWavesPerEU: 54
; NumVGPRsForWavesPerEU: 251
; Occupancy: 1
; WaveLimiterHint : 1
; COMPUTE_PGM_RSRC2:SCRATCH_EN: 0
; COMPUTE_PGM_RSRC2:USER_SGPR: 6
; COMPUTE_PGM_RSRC2:TRAP_HANDLER: 0
; COMPUTE_PGM_RSRC2:TGID_X_EN: 1
; COMPUTE_PGM_RSRC2:TGID_Y_EN: 0
; COMPUTE_PGM_RSRC2:TGID_Z_EN: 0
; COMPUTE_PGM_RSRC2:TIDIG_COMP_CNT: 0
	.type	__hip_cuid_d1a6f3c8618f4faa,@object ; @__hip_cuid_d1a6f3c8618f4faa
	.section	.bss,"aw",@nobits
	.globl	__hip_cuid_d1a6f3c8618f4faa
__hip_cuid_d1a6f3c8618f4faa:
	.byte	0                               ; 0x0
	.size	__hip_cuid_d1a6f3c8618f4faa, 1

	.ident	"AMD clang version 19.0.0git (https://github.com/RadeonOpenCompute/llvm-project roc-6.4.0 25133 c7fe45cf4b819c5991fe208aaa96edf142730f1d)"
	.section	".note.GNU-stack","",@progbits
	.addrsig
	.addrsig_sym __hip_cuid_d1a6f3c8618f4faa
	.amdgpu_metadata
---
amdhsa.kernels:
  - .args:
      - .actual_access:  read_only
        .address_space:  global
        .offset:         0
        .size:           8
        .value_kind:     global_buffer
      - .actual_access:  read_only
        .address_space:  global
        .offset:         8
        .size:           8
        .value_kind:     global_buffer
      - .actual_access:  read_only
        .address_space:  global
        .offset:         16
        .size:           8
        .value_kind:     global_buffer
      - .actual_access:  read_only
        .address_space:  global
        .offset:         24
        .size:           8
        .value_kind:     global_buffer
      - .actual_access:  read_only
        .address_space:  global
        .offset:         32
        .size:           8
        .value_kind:     global_buffer
      - .offset:         40
        .size:           8
        .value_kind:     by_value
      - .address_space:  global
        .offset:         48
        .size:           8
        .value_kind:     global_buffer
      - .address_space:  global
        .offset:         56
        .size:           8
        .value_kind:     global_buffer
      - .address_space:  global
        .offset:         64
        .size:           8
        .value_kind:     global_buffer
      - .address_space:  global
        .offset:         72
        .size:           8
        .value_kind:     global_buffer
      - .offset:         80
        .size:           4
        .value_kind:     by_value
      - .address_space:  global
        .offset:         88
        .size:           8
        .value_kind:     global_buffer
      - .address_space:  global
        .offset:         96
        .size:           8
        .value_kind:     global_buffer
    .group_segment_fixed_size: 37856
    .kernarg_segment_align: 8
    .kernarg_segment_size: 104
    .language:       OpenCL C
    .language_version:
      - 2
      - 0
    .max_flat_workgroup_size: 182
    .name:           bluestein_single_back_len1183_dim1_dp_op_CI_CI
    .private_segment_fixed_size: 0
    .sgpr_count:     54
    .sgpr_spill_count: 0
    .symbol:         bluestein_single_back_len1183_dim1_dp_op_CI_CI.kd
    .uniform_work_group_size: 1
    .uses_dynamic_stack: false
    .vgpr_count:     251
    .vgpr_spill_count: 0
    .wavefront_size: 64
amdhsa.target:   amdgcn-amd-amdhsa--gfx906
amdhsa.version:
  - 1
  - 2
...

	.end_amdgpu_metadata
